;; amdgpu-corpus repo=ROCm/rocFFT kind=compiled arch=gfx950 opt=O3
	.text
	.amdgcn_target "amdgcn-amd-amdhsa--gfx950"
	.amdhsa_code_object_version 6
	.protected	bluestein_single_back_len1352_dim1_dp_op_CI_CI ; -- Begin function bluestein_single_back_len1352_dim1_dp_op_CI_CI
	.globl	bluestein_single_back_len1352_dim1_dp_op_CI_CI
	.p2align	8
	.type	bluestein_single_back_len1352_dim1_dp_op_CI_CI,@function
bluestein_single_back_len1352_dim1_dp_op_CI_CI: ; @bluestein_single_back_len1352_dim1_dp_op_CI_CI
; %bb.0:
	s_load_dwordx4 s[4:7], s[0:1], 0x28
	v_mul_u32_u24_e32 v1, 0x4ed, v0
	v_add_u32_sdwa v10, s2, v1 dst_sel:DWORD dst_unused:UNUSED_PAD src0_sel:DWORD src1_sel:WORD_1
	v_mov_b32_e32 v11, 0
	s_waitcnt lgkmcnt(0)
	v_cmp_gt_u64_e32 vcc, s[4:5], v[10:11]
	s_and_saveexec_b64 s[2:3], vcc
	s_cbranch_execz .LBB0_12
; %bb.1:
	s_load_dwordx4 s[8:11], s[0:1], 0x0
	s_load_dwordx4 s[16:19], s[0:1], 0x18
	s_load_dwordx2 s[12:13], s[0:1], 0x38
	s_mov_b32 s0, 0
	v_mov_b32_e32 v2, s6
	v_mov_b32_e32 v3, s7
	;; [unrolled: 1-line block ×3, first 2 shown]
	s_waitcnt lgkmcnt(0)
	s_load_dwordx4 s[4:7], s[18:19], 0x0
	s_load_dwordx4 s[0:3], s[16:17], 0x0
	v_mov_b32_e32 v4, 52
	v_mul_lo_u16_sdwa v1, v1, v4 dst_sel:DWORD dst_unused:UNUSED_PAD src0_sel:WORD_1 src1_sel:DWORD
	v_sub_u16_e32 v206, v0, v1
	v_lshlrev_b32_e32 v204, 4, v206
	s_waitcnt lgkmcnt(0)
	v_mad_u64_u32 v[0:1], s[14:15], s2, v10, 0
	v_mov_b32_e32 v4, v1
	v_mad_u64_u32 v[4:5], s[2:3], s3, v10, v[4:5]
	v_mov_b32_e32 v1, v4
	;; [unrolled: 2-line block ×4, first 2 shown]
	v_lshl_add_u64 v[0:1], v[0:1], 4, v[2:3]
	v_lshl_add_u64 v[2:3], v[4:5], 4, v[0:1]
	global_load_dwordx4 v[6:9], v[2:3], off
	global_load_dwordx4 v[12:15], v204, s[8:9]
	v_accvgpr_write_b32 a94, v10
	v_mov_b32_e32 v205, v11
	v_lshl_add_u64 v[4:5], s[8:9], 0, v[204:205]
	v_lshl_add_u64 v[152:153], v[206:207], 0, 52
	v_lshlrev_b16_e32 v104, 1, v206
	v_lshlrev_b32_e32 v104, 4, v104
	v_and_b32_e32 v153, 1, v206
	v_add_u32_e32 v202, 0x138, v206
	v_accvgpr_write_b32 a109, v104
	v_lshlrev_b32_e32 v203, 5, v206
	s_mov_b32 s44, 0x4267c47c
	s_mov_b32 s30, 0x42a4c3d2
	;; [unrolled: 1-line block ×30, first 2 shown]
	s_movk_i32 s48, 0xffe6
	s_mov_b32 s49, -1
	v_lshl_add_u64 v[242:243], v[206:207], 0, s[48:49]
	s_movk_i32 s48, 0x4f
	s_movk_i32 s33, 0xc0
	s_waitcnt vmcnt(0)
	v_accvgpr_write_b32 a99, v15
	v_mul_f64 v[10:11], v[8:9], v[14:15]
	v_fmac_f64_e32 v[10:11], v[6:7], v[12:13]
	v_mul_f64 v[6:7], v[6:7], v[14:15]
	v_accvgpr_write_b32 a98, v14
	v_accvgpr_write_b32 a97, v13
	;; [unrolled: 1-line block ×3, first 2 shown]
	v_fma_f64 v[12:13], v[8:9], v[12:13], -v[6:7]
	ds_write_b128 v204, v[10:13]
	v_mov_b32_e32 v10, 0x2a40
	v_mad_u64_u32 v[2:3], s[2:3], s0, v10, v[2:3]
	s_movk_i32 s3, 0x2000
	s_mul_i32 s2, s1, 0x2a40
	v_add_co_u32_e32 v6, vcc, s3, v4
	v_add_u32_e32 v3, s2, v3
	s_nop 0
	v_addc_co_u32_e32 v7, vcc, 0, v5, vcc
	global_load_dwordx4 v[12:15], v[2:3], off
	global_load_dwordx4 v[18:21], v[6:7], off offset:2624
	v_mov_b32_e32 v11, 0xffffd900
	s_mul_i32 s3, s1, 0xffffd900
	v_mad_u64_u32 v[2:3], s[14:15], s0, v11, v[2:3]
	s_sub_i32 s3, s3, s0
	v_add_u32_e32 v3, s3, v3
	s_waitcnt vmcnt(0)
	v_mul_f64 v[16:17], v[14:15], v[20:21]
	v_mul_f64 v[8:9], v[12:13], v[20:21]
	v_accvgpr_write_b32 a0, v18
	v_fmac_f64_e32 v[16:17], v[12:13], v[18:19]
	v_accvgpr_write_b32 a1, v19
	v_accvgpr_write_b32 a2, v20
	;; [unrolled: 1-line block ×3, first 2 shown]
	v_fma_f64 v[18:19], v[14:15], v[18:19], -v[8:9]
	ds_write_b128 v204, v[16:19] offset:10816
	global_load_dwordx4 v[12:15], v[2:3], off
	global_load_dwordx4 v[18:21], v204, s[8:9] offset:832
	v_mad_u64_u32 v[2:3], s[14:15], s0, v10, v[2:3]
	v_add_u32_e32 v3, s2, v3
	s_waitcnt vmcnt(0)
	v_mul_f64 v[16:17], v[14:15], v[20:21]
	v_mul_f64 v[8:9], v[12:13], v[20:21]
	v_accvgpr_write_b32 a4, v18
	v_fmac_f64_e32 v[16:17], v[12:13], v[18:19]
	v_accvgpr_write_b32 a5, v19
	v_accvgpr_write_b32 a6, v20
	;; [unrolled: 1-line block ×3, first 2 shown]
	v_fma_f64 v[18:19], v[14:15], v[18:19], -v[8:9]
	ds_write_b128 v204, v[16:19] offset:832
	global_load_dwordx4 v[12:15], v[2:3], off
	global_load_dwordx4 v[18:21], v[6:7], off offset:3456
	v_mad_u64_u32 v[2:3], s[14:15], s0, v11, v[2:3]
	v_add_u32_e32 v3, s3, v3
	s_waitcnt vmcnt(0)
	v_mul_f64 v[16:17], v[14:15], v[20:21]
	v_mul_f64 v[8:9], v[12:13], v[20:21]
	v_accvgpr_write_b32 a8, v18
	v_fmac_f64_e32 v[16:17], v[12:13], v[18:19]
	v_accvgpr_write_b32 a9, v19
	v_accvgpr_write_b32 a10, v20
	;; [unrolled: 1-line block ×3, first 2 shown]
	v_fma_f64 v[18:19], v[14:15], v[18:19], -v[8:9]
	ds_write_b128 v204, v[16:19] offset:11648
	global_load_dwordx4 v[12:15], v[2:3], off
	global_load_dwordx4 v[18:21], v204, s[8:9] offset:1664
	v_mad_u64_u32 v[2:3], s[14:15], s0, v10, v[2:3]
	s_movk_i32 s14, 0x3000
	v_add_u32_e32 v3, s2, v3
	s_waitcnt vmcnt(0)
	v_mul_f64 v[16:17], v[14:15], v[20:21]
	v_mul_f64 v[8:9], v[12:13], v[20:21]
	v_accvgpr_write_b32 a12, v18
	v_fmac_f64_e32 v[16:17], v[12:13], v[18:19]
	v_accvgpr_write_b32 a13, v19
	v_accvgpr_write_b32 a14, v20
	;; [unrolled: 1-line block ×3, first 2 shown]
	v_fma_f64 v[18:19], v[14:15], v[18:19], -v[8:9]
	v_add_co_u32_e32 v8, vcc, s14, v4
	ds_write_b128 v204, v[16:19] offset:1664
	s_nop 0
	v_addc_co_u32_e32 v9, vcc, 0, v5, vcc
	global_load_dwordx4 v[12:15], v[2:3], off
	global_load_dwordx4 v[18:21], v[8:9], off offset:192
	s_waitcnt vmcnt(0)
	v_mul_f64 v[16:17], v[14:15], v[20:21]
	v_fmac_f64_e32 v[16:17], v[12:13], v[18:19]
	v_mul_f64 v[12:13], v[12:13], v[20:21]
	v_accvgpr_write_b32 a16, v18
	v_accvgpr_write_b32 a17, v19
	;; [unrolled: 1-line block ×4, first 2 shown]
	v_fma_f64 v[18:19], v[14:15], v[18:19], -v[12:13]
	v_mad_u64_u32 v[20:21], s[14:15], s0, v11, v[2:3]
	ds_write_b128 v204, v[16:19] offset:12480
	v_add_u32_e32 v21, s3, v21
	global_load_dwordx4 v[12:15], v[20:21], off
	global_load_dwordx4 v[22:25], v204, s[8:9] offset:2496
	s_waitcnt vmcnt(0)
	v_mul_f64 v[2:3], v[12:13], v[24:25]
	v_mul_f64 v[16:17], v[14:15], v[24:25]
	v_fma_f64 v[18:19], v[14:15], v[22:23], -v[2:3]
	v_or_b32_e32 v14, 0x340, v206
	v_mad_u64_u32 v[2:3], s[14:15], s0, v14, 0
	v_fmac_f64_e32 v[16:17], v[12:13], v[22:23]
	v_mov_b32_e32 v12, v3
	v_mad_u64_u32 v[12:13], s[14:15], s1, v14, v[12:13]
	v_mov_b32_e32 v3, v12
	v_lshl_add_u64 v[0:1], v[2:3], 4, v[0:1]
	v_lshlrev_b32_e32 v12, 4, v14
	ds_write_b128 v204, v[16:19] offset:2496
	global_load_dwordx4 v[0:3], v[0:1], off
	v_accvgpr_write_b32 a24, v14
	global_load_dwordx4 v[14:17], v12, s[8:9]
	v_accvgpr_write_b32 a25, v12
	s_mulk_i32 s1, 0x340
	v_accvgpr_write_b32 a20, v22
	v_accvgpr_write_b32 a21, v23
	;; [unrolled: 1-line block ×4, first 2 shown]
	s_waitcnt vmcnt(0)
	v_accvgpr_write_b32 a29, v17
	v_mul_f64 v[12:13], v[2:3], v[16:17]
	v_fmac_f64_e32 v[12:13], v[0:1], v[14:15]
	v_mul_f64 v[0:1], v[0:1], v[16:17]
	v_accvgpr_write_b32 a28, v16
	v_accvgpr_write_b32 a27, v15
	;; [unrolled: 1-line block ×3, first 2 shown]
	v_fma_f64 v[14:15], v[2:3], v[14:15], -v[0:1]
	v_mov_b32_e32 v0, 0x340
	v_mad_u64_u32 v[16:17], s[14:15], s0, v0, v[20:21]
	ds_write_b128 v204, v[12:15] offset:13312
	v_add_u32_e32 v17, s1, v17
	global_load_dwordx4 v[0:3], v[16:17], off
	global_load_dwordx4 v[18:21], v204, s[8:9] offset:3328
	v_mad_u64_u32 v[16:17], s[14:15], s0, v10, v[16:17]
	v_add_u32_e32 v17, s2, v17
	s_movk_i32 s1, 0x1000
	s_waitcnt vmcnt(0)
	v_mul_f64 v[12:13], v[2:3], v[20:21]
	v_fmac_f64_e32 v[12:13], v[0:1], v[18:19]
	v_mul_f64 v[0:1], v[0:1], v[20:21]
	v_fma_f64 v[14:15], v[2:3], v[18:19], -v[0:1]
	v_accvgpr_write_b32 a33, v21
	ds_write_b128 v204, v[12:15] offset:3328
	v_accvgpr_write_b32 a32, v20
	v_accvgpr_write_b32 a31, v19
	;; [unrolled: 1-line block ×3, first 2 shown]
	global_load_dwordx4 v[0:3], v[16:17], off
	global_load_dwordx4 v[18:21], v[8:9], off offset:1856
	v_mad_u64_u32 v[16:17], s[14:15], s0, v11, v[16:17]
	v_add_u32_e32 v17, s3, v17
	s_waitcnt vmcnt(0)
	v_mul_f64 v[12:13], v[2:3], v[20:21]
	v_fmac_f64_e32 v[12:13], v[0:1], v[18:19]
	v_mul_f64 v[0:1], v[0:1], v[20:21]
	v_accvgpr_write_b32 a57, v21
	v_accvgpr_write_b32 a56, v20
	v_accvgpr_write_b32 a55, v19
	v_accvgpr_write_b32 a54, v18
	v_fma_f64 v[14:15], v[2:3], v[18:19], -v[0:1]
	v_add_co_u32_e32 v18, vcc, s1, v4
	global_load_dwordx4 v[0:3], v[16:17], off
	s_nop 0
	v_addc_co_u32_e32 v19, vcc, 0, v5, vcc
	global_load_dwordx4 v[20:23], v[18:19], off offset:64
	ds_write_b128 v204, v[12:15] offset:14144
	v_mad_u64_u32 v[16:17], s[14:15], s0, v10, v[16:17]
	v_add_u32_e32 v17, s2, v17
	s_movk_i32 s1, 0x4000
	s_waitcnt vmcnt(0)
	v_mul_f64 v[12:13], v[2:3], v[22:23]
	v_fmac_f64_e32 v[12:13], v[0:1], v[20:21]
	v_mul_f64 v[0:1], v[0:1], v[22:23]
	v_fma_f64 v[14:15], v[2:3], v[20:21], -v[0:1]
	v_accvgpr_write_b32 a93, v23
	ds_write_b128 v204, v[12:15] offset:4160
	v_accvgpr_write_b32 a92, v22
	v_accvgpr_write_b32 a91, v21
	v_accvgpr_write_b32 a90, v20
	global_load_dwordx4 v[0:3], v[16:17], off
	global_load_dwordx4 v[20:23], v[8:9], off offset:2688
	v_mad_u64_u32 v[16:17], s[14:15], s0, v11, v[16:17]
	v_add_u32_e32 v17, s3, v17
	s_waitcnt vmcnt(0)
	v_mul_f64 v[12:13], v[2:3], v[22:23]
	v_fmac_f64_e32 v[12:13], v[0:1], v[20:21]
	v_mul_f64 v[0:1], v[0:1], v[22:23]
	v_fma_f64 v[14:15], v[2:3], v[20:21], -v[0:1]
	v_accvgpr_write_b32 a81, v23
	ds_write_b128 v204, v[12:15] offset:14976
	v_accvgpr_write_b32 a80, v22
	v_accvgpr_write_b32 a79, v21
	v_accvgpr_write_b32 a78, v20
	global_load_dwordx4 v[0:3], v[16:17], off
	global_load_dwordx4 v[20:23], v[18:19], off offset:896
	v_mad_u64_u32 v[16:17], s[14:15], s0, v10, v[16:17]
	v_add_u32_e32 v17, s2, v17
	;; [unrolled: 14-line block ×3, first 2 shown]
	s_waitcnt vmcnt(0)
	v_mul_f64 v[12:13], v[2:3], v[22:23]
	v_fmac_f64_e32 v[12:13], v[0:1], v[20:21]
	v_mul_f64 v[0:1], v[0:1], v[22:23]
	v_fma_f64 v[14:15], v[2:3], v[20:21], -v[0:1]
	ds_write_b128 v204, v[12:15] offset:15808
	global_load_dwordx4 v[0:3], v[8:9], off
	global_load_dwordx4 v[14:17], v[18:19], off offset:1728
	v_mad_u64_u32 v[8:9], s[14:15], s0, v10, v[8:9]
	v_accvgpr_write_b32 a65, v23
	v_add_u32_e32 v9, s2, v9
	v_accvgpr_write_b32 a64, v22
	v_accvgpr_write_b32 a63, v21
	;; [unrolled: 1-line block ×3, first 2 shown]
	s_waitcnt vmcnt(0)
	v_mul_f64 v[12:13], v[2:3], v[16:17]
	v_accvgpr_write_b32 a85, v17
	v_fmac_f64_e32 v[12:13], v[0:1], v[14:15]
	v_mul_f64 v[0:1], v[0:1], v[16:17]
	v_accvgpr_write_b32 a84, v16
	v_accvgpr_write_b32 a83, v15
	;; [unrolled: 1-line block ×3, first 2 shown]
	v_add_co_u32_e32 v16, vcc, s1, v4
	v_fma_f64 v[14:15], v[2:3], v[14:15], -v[0:1]
	s_nop 0
	v_addc_co_u32_e32 v17, vcc, 0, v5, vcc
	global_load_dwordx4 v[0:3], v[8:9], off
	global_load_dwordx4 v[20:23], v[16:17], off offset:256
	ds_write_b128 v204, v[12:15] offset:5824
	v_mad_u64_u32 v[8:9], s[14:15], s0, v11, v[8:9]
	v_add_u32_e32 v9, s3, v9
	s_waitcnt vmcnt(0)
	v_mul_f64 v[12:13], v[2:3], v[22:23]
	v_fmac_f64_e32 v[12:13], v[0:1], v[20:21]
	v_mul_f64 v[0:1], v[0:1], v[22:23]
	v_fma_f64 v[14:15], v[2:3], v[20:21], -v[0:1]
	v_accvgpr_write_b32 a89, v23
	ds_write_b128 v204, v[12:15] offset:16640
	v_accvgpr_write_b32 a88, v22
	v_accvgpr_write_b32 a87, v21
	v_accvgpr_write_b32 a86, v20
	global_load_dwordx4 v[0:3], v[8:9], off
	global_load_dwordx4 v[20:23], v[18:19], off offset:2560
	v_mad_u64_u32 v[8:9], s[14:15], s0, v10, v[8:9]
	v_add_u32_e32 v9, s2, v9
	s_waitcnt vmcnt(0)
	v_mul_f64 v[12:13], v[2:3], v[22:23]
	v_fmac_f64_e32 v[12:13], v[0:1], v[20:21]
	v_mul_f64 v[0:1], v[0:1], v[22:23]
	v_fma_f64 v[14:15], v[2:3], v[20:21], -v[0:1]
	v_accvgpr_write_b32 a69, v23
	ds_write_b128 v204, v[12:15] offset:6656
	v_accvgpr_write_b32 a68, v22
	v_accvgpr_write_b32 a67, v21
	v_accvgpr_write_b32 a66, v20
	global_load_dwordx4 v[0:3], v[8:9], off
	global_load_dwordx4 v[20:23], v[16:17], off offset:1088
	;; [unrolled: 14-line block ×8, first 2 shown]
	v_mad_u64_u32 v[8:9], s[14:15], s0, v11, v[8:9]
	v_add_u32_e32 v9, s3, v9
	s_mov_b32 s14, 0x1ea71119
	s_mov_b32 s15, 0x3fe22d96
	s_waitcnt vmcnt(0)
	v_mul_f64 v[12:13], v[2:3], v[20:21]
	v_fmac_f64_e32 v[12:13], v[0:1], v[18:19]
	v_mul_f64 v[0:1], v[0:1], v[20:21]
	v_fma_f64 v[14:15], v[2:3], v[18:19], -v[0:1]
	ds_write_b128 v204, v[12:15] offset:19968
	global_load_dwordx4 v[0:3], v[8:9], off
	global_load_dwordx4 v[14:17], v[6:7], off offset:1792
	v_accvgpr_write_b32 a37, v21
	v_accvgpr_write_b32 a36, v20
	;; [unrolled: 1-line block ×4, first 2 shown]
	s_waitcnt vmcnt(0)
	v_mul_f64 v[12:13], v[2:3], v[16:17]
	v_fmac_f64_e32 v[12:13], v[0:1], v[14:15]
	v_mul_f64 v[0:1], v[0:1], v[16:17]
	v_accvgpr_write_b32 a103, v17
	v_accvgpr_write_b32 a102, v16
	;; [unrolled: 1-line block ×4, first 2 shown]
	v_fma_f64 v[14:15], v[2:3], v[14:15], -v[0:1]
	v_mad_u64_u32 v[0:1], s[0:1], s0, v10, v[8:9]
	s_movk_i32 s0, 0x5000
	s_nop 0
	v_add_co_u32_e32 v4, vcc, s0, v4
	v_add_u32_e32 v1, s2, v1
	s_nop 0
	v_addc_co_u32_e32 v5, vcc, 0, v5, vcc
	global_load_dwordx4 v[0:3], v[0:1], off
	ds_write_b128 v204, v[12:15] offset:9984
	global_load_dwordx4 v[6:9], v[4:5], off offset:320
	s_mov_b32 s0, 0xebaa3ed8
	s_mov_b32 s2, 0xb2365da1
	;; [unrolled: 1-line block ×4, first 2 shown]
	v_cmp_gt_u16_e32 vcc, 26, v206
	s_waitcnt vmcnt(0)
	v_mul_f64 v[4:5], v[2:3], v[8:9]
	v_fmac_f64_e32 v[4:5], v[0:1], v[6:7]
	v_mul_f64 v[0:1], v[0:1], v[8:9]
	v_accvgpr_write_b32 a107, v9
	v_accvgpr_write_b32 a106, v8
	v_accvgpr_write_b32 a105, v7
	v_accvgpr_write_b32 a104, v6
	v_fma_f64 v[6:7], v[2:3], v[6:7], -v[0:1]
	ds_write_b128 v204, v[4:7] offset:20800
	s_waitcnt lgkmcnt(0)
	; wave barrier
	s_waitcnt lgkmcnt(0)
	ds_read_b128 v[0:3], v204
	ds_read_b128 v[12:15], v204 offset:10816
	ds_read_b128 v[8:11], v204 offset:832
	;; [unrolled: 1-line block ×25, first 2 shown]
	s_waitcnt lgkmcnt(14)
	v_add_f64 v[12:13], v[0:1], -v[12:13]
	v_add_f64 v[14:15], v[2:3], -v[14:15]
	v_fma_f64 v[0:1], v[0:1], 2.0, -v[12:13]
	v_fma_f64 v[2:3], v[2:3], 2.0, -v[14:15]
	v_add_f64 v[16:17], v[8:9], -v[16:17]
	v_add_f64 v[18:19], v[10:11], -v[18:19]
	v_fma_f64 v[8:9], v[8:9], 2.0, -v[16:17]
	v_fma_f64 v[10:11], v[10:11], 2.0, -v[18:19]
	v_add_f64 v[20:21], v[4:5], -v[20:21]
	v_add_f64 v[22:23], v[6:7], -v[22:23]
	;; [unrolled: 1-line block ×8, first 2 shown]
	s_waitcnt lgkmcnt(12)
	v_add_f64 v[52:53], v[48:49], -v[52:53]
	v_add_f64 v[54:55], v[50:51], -v[54:55]
	s_waitcnt lgkmcnt(10)
	v_add_f64 v[60:61], v[56:57], -v[60:61]
	v_add_f64 v[62:63], v[58:59], -v[62:63]
	;; [unrolled: 3-line block ×7, first 2 shown]
	s_waitcnt lgkmcnt(0)
	; wave barrier
	ds_write_b128 v104, v[0:3]
	ds_write_b128 v104, v[12:15] offset:16
	v_lshlrev_b32_e32 v0, 5, v152
	v_mul_u32_u24_e32 v104, 12, v153
	v_fma_f64 v[4:5], v[4:5], 2.0, -v[20:21]
	v_fma_f64 v[6:7], v[6:7], 2.0, -v[22:23]
	;; [unrolled: 1-line block ×22, first 2 shown]
	ds_write_b128 v0, v[8:11]
	v_accvgpr_write_b32 a108, v0
	ds_write_b128 v0, v[16:19] offset:16
	ds_write_b128 v203, v[4:7] offset:3328
	;; [unrolled: 1-line block ×9, first 2 shown]
	v_lshlrev_b32_e32 v0, 5, v202
	v_lshlrev_b32_e32 v148, 4, v104
	ds_write_b128 v203, v[48:51] offset:9984
	v_accvgpr_write_b32 a95, v0
	ds_write_b128 v0, v[52:55] offset:16
	ds_write_b128 v203, v[56:59] offset:11648
	;; [unrolled: 1-line block ×13, first 2 shown]
	s_waitcnt lgkmcnt(0)
	; wave barrier
	s_waitcnt lgkmcnt(0)
	ds_read_b128 v[8:11], v204
	ds_read_b128 v[100:103], v204 offset:1664
	ds_read_b128 v[96:99], v204 offset:3328
	;; [unrolled: 1-line block ×25, first 2 shown]
	global_load_dwordx4 v[104:107], v148, s[10:11] offset:48
	global_load_dwordx4 v[120:123], v148, s[10:11] offset:32
	;; [unrolled: 1-line block ×3, first 2 shown]
	global_load_dwordx4 v[144:147], v148, s[10:11]
	v_cndmask_b32_e32 v207, v242, v206, vcc
	s_waitcnt vmcnt(3) lgkmcnt(14)
	v_mul_f64 v[174:175], v[88:89], v[106:107]
	s_waitcnt vmcnt(2)
	v_mul_f64 v[178:179], v[92:93], v[122:123]
	s_waitcnt vmcnt(1)
	;; [unrolled: 2-line block ×3, first 2 shown]
	v_mul_f64 v[108:109], v[102:103], v[146:147]
	v_fma_f64 v[196:197], v[100:101], v[144:145], -v[108:109]
	global_load_dwordx4 v[108:111], v148, s[10:11] offset:112
	global_load_dwordx4 v[112:115], v148, s[10:11] offset:96
	;; [unrolled: 1-line block ×7, first 2 shown]
	s_nop 0
	global_load_dwordx4 v[148:151], v148, s[10:11] offset:128
	v_mul_f64 v[194:195], v[100:101], v[146:147]
	v_mul_f64 v[100:101], v[98:99], v[130:131]
	v_fma_f64 v[188:189], v[96:97], v[128:129], -v[100:101]
	v_mul_f64 v[96:97], v[94:95], v[122:123]
	v_fma_f64 v[180:181], v[92:93], v[120:121], -v[96:97]
	;; [unrolled: 2-line block ×3, first 2 shown]
	v_fmac_f64_e32 v[194:195], v[102:103], v[144:145]
	s_waitcnt lgkmcnt(11)
	v_mul_f64 v[100:101], v[52:53], v[146:147]
	v_fmac_f64_e32 v[178:179], v[94:95], v[120:121]
	s_waitcnt lgkmcnt(10)
	v_mul_f64 v[92:93], v[48:49], v[130:131]
	v_fmac_f64_e32 v[174:175], v[90:91], v[104:105]
	v_fmac_f64_e32 v[186:187], v[98:99], v[128:129]
	;; [unrolled: 1-line block ×4, first 2 shown]
	s_waitcnt lgkmcnt(0)
	; wave barrier
	s_waitcnt vmcnt(7) lgkmcnt(0)
	v_mul_f64 v[170:171], v[72:73], v[110:111]
	s_waitcnt vmcnt(6)
	v_mul_f64 v[162:163], v[76:77], v[114:115]
	s_waitcnt vmcnt(5)
	;; [unrolled: 2-line block ×3, first 2 shown]
	v_mul_f64 v[88:89], v[86:87], v[142:143]
	v_fma_f64 v[168:169], v[84:85], v[140:141], -v[88:89]
	v_mul_f64 v[166:167], v[84:85], v[142:143]
	v_mul_f64 v[84:85], v[82:83], v[118:119]
	v_fma_f64 v[160:161], v[80:81], v[116:117], -v[84:85]
	v_mul_f64 v[80:81], v[78:79], v[114:115]
	v_fma_f64 v[164:165], v[76:77], v[112:113], -v[80:81]
	;; [unrolled: 2-line block ×3, first 2 shown]
	s_waitcnt vmcnt(0)
	v_mul_f64 v[72:73], v[70:71], v[150:151]
	v_fma_f64 v[184:185], v[68:69], v[148:149], -v[72:73]
	v_mul_f64 v[182:183], v[68:69], v[150:151]
	v_mul_f64 v[68:69], v[66:67], v[138:139]
	v_fma_f64 v[192:193], v[64:65], v[136:137], -v[68:69]
	v_mul_f64 v[190:191], v[64:65], v[138:139]
	;; [unrolled: 3-line block ×4, first 2 shown]
	v_fmac_f64_e32 v[56:57], v[58:59], v[124:125]
	v_mul_f64 v[58:59], v[54:55], v[146:147]
	v_fma_f64 v[102:103], v[52:53], v[144:145], -v[58:59]
	v_mul_f64 v[52:53], v[50:51], v[130:131]
	v_fma_f64 v[94:95], v[48:49], v[128:129], -v[52:53]
	v_mul_f64 v[48:49], v[46:47], v[122:123]
	v_fmac_f64_e32 v[166:167], v[86:87], v[140:141]
	v_fma_f64 v[86:87], v[44:45], v[120:121], -v[48:49]
	v_mul_f64 v[84:85], v[44:45], v[122:123]
	v_mul_f64 v[44:45], v[42:43], v[106:107]
	v_fmac_f64_e32 v[162:163], v[78:79], v[112:113]
	v_fma_f64 v[78:79], v[40:41], v[104:105], -v[44:45]
	v_mul_f64 v[76:77], v[40:41], v[106:107]
	;; [unrolled: 4-line block ×7, first 2 shown]
	v_mul_f64 v[20:21], v[18:19], v[138:139]
	v_fma_f64 v[90:91], v[16:17], v[136:137], -v[20:21]
	v_mul_f64 v[88:89], v[16:17], v[138:139]
	v_mul_f64 v[16:17], v[14:15], v[134:135]
	;; [unrolled: 1-line block ×3, first 2 shown]
	v_fma_f64 v[98:99], v[12:13], v[132:133], -v[16:17]
	v_mul_f64 v[96:97], v[12:13], v[134:135]
	v_mul_f64 v[12:13], v[2:3], v[126:127]
	v_fmac_f64_e32 v[154:155], v[2:3], v[124:125]
	v_add_f64 v[2:3], v[10:11], v[194:195]
	v_fma_f64 v[156:157], v[0:1], v[124:125], -v[12:13]
	v_add_f64 v[0:1], v[8:9], v[196:197]
	v_add_f64 v[2:3], v[2:3], v[186:187]
	v_add_f64 v[0:1], v[0:1], v[188:189]
	v_add_f64 v[2:3], v[2:3], v[178:179]
	v_add_f64 v[0:1], v[0:1], v[180:181]
	v_add_f64 v[2:3], v[2:3], v[174:175]
	v_add_f64 v[0:1], v[0:1], v[176:177]
	v_add_f64 v[2:3], v[2:3], v[166:167]
	v_add_f64 v[0:1], v[0:1], v[168:169]
	v_add_f64 v[2:3], v[2:3], v[158:159]
	v_add_f64 v[0:1], v[0:1], v[160:161]
	v_add_f64 v[2:3], v[2:3], v[162:163]
	v_add_f64 v[0:1], v[0:1], v[164:165]
	v_add_f64 v[2:3], v[2:3], v[170:171]
	v_add_f64 v[0:1], v[0:1], v[172:173]
	v_add_f64 v[2:3], v[2:3], v[182:183]
	v_add_f64 v[0:1], v[0:1], v[184:185]
	v_add_f64 v[2:3], v[2:3], v[190:191]
	v_add_f64 v[50:51], v[194:195], -v[56:57]
	v_fmac_f64_e32 v[68:69], v[38:39], v[140:141]
	v_fmac_f64_e32 v[60:61], v[34:35], v[116:117]
	v_add_f64 v[0:1], v[0:1], v[192:193]
	v_add_f64 v[2:3], v[2:3], v[198:199]
	;; [unrolled: 1-line block ×3, first 2 shown]
	v_add_f64 v[48:49], v[196:197], -v[208:209]
	v_mul_f64 v[16:17], v[50:51], s[44:45]
	v_mul_f64 v[24:25], v[50:51], s[30:31]
	;; [unrolled: 1-line block ×6, first 2 shown]
	v_fmac_f64_e32 v[84:85], v[46:47], v[120:121]
	v_fmac_f64_e32 v[64:65], v[30:31], v[112:113]
	;; [unrolled: 1-line block ×4, first 2 shown]
	v_add_f64 v[0:1], v[0:1], v[200:201]
	v_add_f64 v[2:3], v[2:3], v[56:57]
	v_add_f64 v[28:29], v[194:195], v[56:57]
	v_fma_f64 v[12:13], v[38:39], s[20:21], -v[16:17]
	v_mul_f64 v[18:19], v[48:49], s[44:45]
	v_fmac_f64_e32 v[16:17], s[20:21], v[38:39]
	v_fma_f64 v[20:21], v[38:39], s[14:15], -v[24:25]
	v_mul_f64 v[26:27], v[48:49], s[30:31]
	v_fmac_f64_e32 v[24:25], s[14:15], v[38:39]
	;; [unrolled: 3-line block ×6, first 2 shown]
	v_add_f64 v[0:1], v[0:1], v[208:209]
	v_add_f64 v[12:13], v[8:9], v[12:13]
	;; [unrolled: 1-line block ×12, first 2 shown]
	v_fma_f64 v[196:197], s[26:27], v[28:29], v[48:49]
	v_add_f64 v[208:209], v[8:9], v[50:51]
	v_fma_f64 v[8:9], v[28:29], s[26:27], -v[48:49]
	v_add_f64 v[48:49], v[186:187], -v[198:199]
	v_fmac_f64_e32 v[76:77], v[42:43], v[104:105]
	v_fmac_f64_e32 v[80:81], v[22:23], v[148:149]
	;; [unrolled: 1-line block ×3, first 2 shown]
	v_fma_f64 v[14:15], s[20:21], v[28:29], v[18:19]
	v_fma_f64 v[18:19], v[28:29], s[20:21], -v[18:19]
	v_fma_f64 v[22:23], s[14:15], v[28:29], v[26:27]
	v_fma_f64 v[26:27], v[28:29], s[14:15], -v[26:27]
	;; [unrolled: 2-line block ×5, first 2 shown]
	v_add_f64 v[210:211], v[10:11], v[8:9]
	v_add_f64 v[212:213], v[188:189], v[200:201]
	v_mul_f64 v[8:9], v[48:49], s[30:31]
	v_add_f64 v[14:15], v[10:11], v[14:15]
	v_add_f64 v[18:19], v[10:11], v[18:19]
	;; [unrolled: 1-line block ×11, first 2 shown]
	v_add_f64 v[50:51], v[188:189], -v[200:201]
	v_fma_f64 v[10:11], v[212:213], s[14:15], -v[8:9]
	v_add_f64 v[214:215], v[186:187], v[198:199]
	v_add_f64 v[28:29], v[10:11], v[12:13]
	v_mul_f64 v[10:11], v[50:51], s[30:31]
	v_fmac_f64_e32 v[8:9], s[14:15], v[212:213]
	v_add_f64 v[16:17], v[8:9], v[16:17]
	v_fma_f64 v[8:9], v[214:215], s[14:15], -v[10:11]
	v_add_f64 v[18:19], v[8:9], v[18:19]
	v_mul_f64 v[8:9], v[48:49], s[16:17]
	v_fma_f64 v[12:13], s[14:15], v[214:215], v[10:11]
	v_fma_f64 v[10:11], v[212:213], s[2:3], -v[8:9]
	v_add_f64 v[38:39], v[12:13], v[14:15]
	v_add_f64 v[20:21], v[10:11], v[20:21]
	v_mul_f64 v[10:11], v[50:51], s[16:17]
	v_fmac_f64_e32 v[8:9], s[2:3], v[212:213]
	v_mul_f64 v[14:15], v[50:51], s[28:29]
	v_fma_f64 v[12:13], s[2:3], v[214:215], v[10:11]
	v_add_f64 v[24:25], v[8:9], v[24:25]
	v_fma_f64 v[8:9], v[214:215], s[2:3], -v[10:11]
	v_fma_f64 v[10:11], s[26:27], v[214:215], v[14:15]
	v_fma_f64 v[14:15], v[214:215], s[26:27], -v[14:15]
	v_add_f64 v[14:15], v[14:15], v[36:37]
	v_mul_f64 v[36:37], v[50:51], s[40:41]
	v_add_f64 v[10:11], v[10:11], v[32:33]
	v_fma_f64 v[32:33], s[22:23], v[214:215], v[36:37]
	v_fma_f64 v[36:37], v[214:215], s[22:23], -v[36:37]
	v_add_f64 v[36:37], v[36:37], v[46:47]
	v_mul_f64 v[46:47], v[50:51], s[18:19]
	v_add_f64 v[32:33], v[32:33], v[42:43]
	v_fma_f64 v[42:43], s[0:1], v[214:215], v[46:47]
	v_add_f64 v[42:43], v[42:43], v[58:59]
	v_fma_f64 v[46:47], v[214:215], s[0:1], -v[46:47]
	v_add_f64 v[58:59], v[178:179], v[190:191]
	v_add_f64 v[178:179], v[178:179], -v[190:191]
	v_add_f64 v[46:47], v[46:47], v[56:57]
	v_add_f64 v[56:57], v[180:181], v[192:193]
	v_mul_f64 v[186:187], v[178:179], s[36:37]
	v_add_f64 v[180:181], v[180:181], -v[192:193]
	v_fma_f64 v[188:189], v[56:57], s[0:1], -v[186:187]
	v_add_f64 v[28:29], v[188:189], v[28:29]
	v_mul_f64 v[188:189], v[180:181], s[36:37]
	v_fmac_f64_e32 v[186:187], s[0:1], v[56:57]
	v_add_f64 v[16:17], v[186:187], v[16:17]
	v_fma_f64 v[186:187], v[58:59], s[0:1], -v[188:189]
	v_add_f64 v[18:19], v[186:187], v[18:19]
	v_mul_f64 v[186:187], v[178:179], s[28:29]
	v_fma_f64 v[190:191], s[0:1], v[58:59], v[188:189]
	v_fma_f64 v[188:189], v[56:57], s[26:27], -v[186:187]
	v_add_f64 v[20:21], v[188:189], v[20:21]
	v_mul_f64 v[188:189], v[180:181], s[28:29]
	v_fmac_f64_e32 v[186:187], s[26:27], v[56:57]
	v_add_f64 v[22:23], v[12:13], v[22:23]
	v_add_f64 v[26:27], v[8:9], v[26:27]
	v_mul_f64 v[12:13], v[48:49], s[28:29]
	v_add_f64 v[24:25], v[186:187], v[24:25]
	v_fma_f64 v[186:187], v[58:59], s[26:27], -v[188:189]
	v_fma_f64 v[8:9], v[212:213], s[26:27], -v[12:13]
	v_add_f64 v[26:27], v[186:187], v[26:27]
	v_mul_f64 v[186:187], v[178:179], s[46:47]
	v_add_f64 v[8:9], v[8:9], v[30:31]
	v_fmac_f64_e32 v[12:13], s[26:27], v[212:213]
	v_add_f64 v[38:39], v[190:191], v[38:39]
	v_fma_f64 v[190:191], s[26:27], v[58:59], v[188:189]
	v_fma_f64 v[188:189], v[56:57], s[2:3], -v[186:187]
	v_add_f64 v[12:13], v[12:13], v[34:35]
	v_add_f64 v[8:9], v[188:189], v[8:9]
	v_mul_f64 v[188:189], v[180:181], s[46:47]
	v_fmac_f64_e32 v[186:187], s[2:3], v[56:57]
	v_mul_f64 v[34:35], v[48:49], s[40:41]
	v_add_f64 v[12:13], v[186:187], v[12:13]
	v_fma_f64 v[186:187], v[58:59], s[2:3], -v[188:189]
	v_fma_f64 v[30:31], v[212:213], s[22:23], -v[34:35]
	v_add_f64 v[14:15], v[186:187], v[14:15]
	v_mul_f64 v[186:187], v[178:179], s[34:35]
	v_add_f64 v[30:31], v[30:31], v[40:41]
	v_fmac_f64_e32 v[34:35], s[22:23], v[212:213]
	v_add_f64 v[22:23], v[190:191], v[22:23]
	v_fma_f64 v[190:191], s[2:3], v[58:59], v[188:189]
	v_fma_f64 v[188:189], v[56:57], s[20:21], -v[186:187]
	v_add_f64 v[34:35], v[34:35], v[44:45]
	v_add_f64 v[30:31], v[188:189], v[30:31]
	v_mul_f64 v[188:189], v[180:181], s[34:35]
	v_fmac_f64_e32 v[186:187], s[20:21], v[56:57]
	v_mul_f64 v[44:45], v[48:49], s[18:19]
	v_add_f64 v[34:35], v[186:187], v[34:35]
	v_fma_f64 v[186:187], v[58:59], s[20:21], -v[188:189]
	v_fma_f64 v[40:41], v[212:213], s[0:1], -v[44:45]
	v_add_f64 v[36:37], v[186:187], v[36:37]
	v_mul_f64 v[186:187], v[178:179], s[30:31]
	v_add_f64 v[40:41], v[40:41], v[54:55]
	v_fmac_f64_e32 v[44:45], s[0:1], v[212:213]
	v_add_f64 v[10:11], v[190:191], v[10:11]
	v_fma_f64 v[190:191], s[20:21], v[58:59], v[188:189]
	v_fma_f64 v[188:189], v[56:57], s[14:15], -v[186:187]
	v_add_f64 v[44:45], v[44:45], v[52:53]
	v_mul_f64 v[52:53], v[48:49], s[34:35]
	v_add_f64 v[40:41], v[188:189], v[40:41]
	v_mul_f64 v[188:189], v[180:181], s[30:31]
	v_fmac_f64_e32 v[186:187], s[14:15], v[56:57]
	v_fma_f64 v[48:49], v[212:213], s[20:21], -v[52:53]
	v_mul_f64 v[54:55], v[50:51], s[34:35]
	v_add_f64 v[44:45], v[186:187], v[44:45]
	v_fma_f64 v[186:187], v[58:59], s[14:15], -v[188:189]
	v_mul_f64 v[178:179], v[178:179], s[24:25]
	v_add_f64 v[48:49], v[48:49], v[194:195]
	v_fma_f64 v[50:51], s[20:21], v[214:215], v[54:55]
	v_fmac_f64_e32 v[52:53], s[20:21], v[212:213]
	v_fma_f64 v[54:55], v[214:215], s[20:21], -v[54:55]
	v_add_f64 v[46:47], v[186:187], v[46:47]
	v_fma_f64 v[186:187], v[56:57], s[22:23], -v[178:179]
	v_mul_f64 v[180:181], v[180:181], s[24:25]
	v_add_f64 v[52:53], v[52:53], v[208:209]
	v_add_f64 v[54:55], v[54:55], v[210:211]
	;; [unrolled: 1-line block ×3, first 2 shown]
	v_fma_f64 v[190:191], s[14:15], v[58:59], v[188:189]
	v_add_f64 v[48:49], v[186:187], v[48:49]
	v_fma_f64 v[186:187], s[22:23], v[58:59], v[180:181]
	v_fmac_f64_e32 v[178:179], s[22:23], v[56:57]
	v_fma_f64 v[56:57], v[58:59], s[22:23], -v[180:181]
	v_add_f64 v[58:59], v[174:175], v[182:183]
	v_add_f64 v[174:175], v[174:175], -v[182:183]
	v_add_f64 v[52:53], v[178:179], v[52:53]
	v_add_f64 v[54:55], v[56:57], v[54:55]
	;; [unrolled: 1-line block ×3, first 2 shown]
	v_mul_f64 v[178:179], v[174:175], s[16:17]
	v_add_f64 v[176:177], v[176:177], -v[184:185]
	v_fma_f64 v[180:181], v[56:57], s[2:3], -v[178:179]
	v_add_f64 v[28:29], v[180:181], v[28:29]
	v_mul_f64 v[180:181], v[176:177], s[16:17]
	v_fmac_f64_e32 v[178:179], s[2:3], v[56:57]
	v_add_f64 v[16:17], v[178:179], v[16:17]
	v_fma_f64 v[178:179], v[58:59], s[2:3], -v[180:181]
	v_add_f64 v[18:19], v[178:179], v[18:19]
	v_mul_f64 v[178:179], v[174:175], s[40:41]
	v_fma_f64 v[182:183], s[2:3], v[58:59], v[180:181]
	v_fma_f64 v[180:181], v[56:57], s[22:23], -v[178:179]
	v_add_f64 v[20:21], v[180:181], v[20:21]
	v_mul_f64 v[180:181], v[176:177], s[40:41]
	v_fmac_f64_e32 v[178:179], s[22:23], v[56:57]
	v_add_f64 v[24:25], v[178:179], v[24:25]
	v_fma_f64 v[178:179], v[58:59], s[22:23], -v[180:181]
	v_add_f64 v[26:27], v[178:179], v[26:27]
	v_mul_f64 v[178:179], v[174:175], s[34:35]
	v_add_f64 v[38:39], v[182:183], v[38:39]
	v_fma_f64 v[182:183], s[22:23], v[58:59], v[180:181]
	v_fma_f64 v[180:181], v[56:57], s[20:21], -v[178:179]
	v_add_f64 v[8:9], v[180:181], v[8:9]
	v_mul_f64 v[180:181], v[176:177], s[34:35]
	v_fmac_f64_e32 v[178:179], s[20:21], v[56:57]
	v_add_f64 v[178:179], v[178:179], v[12:13]
	v_fma_f64 v[12:13], v[58:59], s[20:21], -v[180:181]
	v_add_f64 v[22:23], v[182:183], v[22:23]
	v_fma_f64 v[182:183], s[20:21], v[58:59], v[180:181]
	v_add_f64 v[180:181], v[12:13], v[14:15]
	v_mul_f64 v[12:13], v[174:175], s[36:37]
	v_fma_f64 v[14:15], v[56:57], s[0:1], -v[12:13]
	v_add_f64 v[50:51], v[50:51], v[196:197]
	v_add_f64 v[10:11], v[182:183], v[10:11]
	v_add_f64 v[182:183], v[14:15], v[30:31]
	v_mul_f64 v[14:15], v[176:177], s[36:37]
	v_fmac_f64_e32 v[12:13], s[0:1], v[56:57]
	v_add_f64 v[50:51], v[186:187], v[50:51]
	v_add_f64 v[186:187], v[12:13], v[34:35]
	v_fma_f64 v[12:13], v[58:59], s[0:1], -v[14:15]
	v_add_f64 v[188:189], v[12:13], v[36:37]
	v_mul_f64 v[12:13], v[174:175], s[42:43]
	v_fma_f64 v[30:31], s[0:1], v[58:59], v[14:15]
	v_fma_f64 v[14:15], v[56:57], s[26:27], -v[12:13]
	v_add_f64 v[40:41], v[14:15], v[40:41]
	v_mul_f64 v[14:15], v[176:177], s[42:43]
	v_fmac_f64_e32 v[12:13], s[26:27], v[56:57]
	v_add_f64 v[44:45], v[12:13], v[44:45]
	v_fma_f64 v[12:13], v[58:59], s[26:27], -v[14:15]
	v_add_f64 v[46:47], v[12:13], v[46:47]
	v_mul_f64 v[12:13], v[174:175], s[38:39]
	v_add_f64 v[184:185], v[30:31], v[32:33]
	v_fma_f64 v[30:31], s[26:27], v[58:59], v[14:15]
	v_fma_f64 v[14:15], v[56:57], s[14:15], -v[12:13]
	v_add_f64 v[42:43], v[190:191], v[42:43]
	v_add_f64 v[48:49], v[14:15], v[48:49]
	v_mul_f64 v[14:15], v[176:177], s[38:39]
	v_fmac_f64_e32 v[12:13], s[14:15], v[56:57]
	v_add_f64 v[42:43], v[30:31], v[42:43]
	v_fma_f64 v[30:31], s[14:15], v[58:59], v[14:15]
	v_add_f64 v[52:53], v[12:13], v[52:53]
	v_fma_f64 v[12:13], v[58:59], s[14:15], -v[14:15]
	v_add_f64 v[58:59], v[166:167], v[170:171]
	v_add_f64 v[166:167], v[166:167], -v[170:171]
	v_add_f64 v[54:55], v[12:13], v[54:55]
	v_add_f64 v[56:57], v[168:169], v[172:173]
	v_mul_f64 v[12:13], v[166:167], s[24:25]
	v_add_f64 v[168:169], v[168:169], -v[172:173]
	v_fma_f64 v[14:15], v[56:57], s[22:23], -v[12:13]
	v_add_f64 v[170:171], v[14:15], v[28:29]
	v_mul_f64 v[14:15], v[168:169], s[24:25]
	v_fma_f64 v[28:29], s[22:23], v[58:59], v[14:15]
	v_add_f64 v[172:173], v[28:29], v[38:39]
	v_fmac_f64_e32 v[12:13], s[22:23], v[56:57]
	v_mul_f64 v[28:29], v[166:167], s[18:19]
	v_add_f64 v[12:13], v[12:13], v[16:17]
	v_fma_f64 v[16:17], v[56:57], s[0:1], -v[28:29]
	v_fmac_f64_e32 v[28:29], s[0:1], v[56:57]
	v_add_f64 v[50:51], v[30:31], v[50:51]
	v_fma_f64 v[14:15], v[58:59], s[22:23], -v[14:15]
	v_add_f64 v[16:17], v[16:17], v[20:21]
	v_mul_f64 v[30:31], v[168:169], s[18:19]
	v_add_f64 v[20:21], v[28:29], v[24:25]
	v_mul_f64 v[28:29], v[166:167], s[30:31]
	v_add_f64 v[14:15], v[14:15], v[18:19]
	v_fma_f64 v[18:19], s[0:1], v[58:59], v[30:31]
	v_fma_f64 v[24:25], v[56:57], s[14:15], -v[28:29]
	v_add_f64 v[18:19], v[18:19], v[22:23]
	v_fma_f64 v[22:23], v[58:59], s[0:1], -v[30:31]
	v_add_f64 v[24:25], v[24:25], v[8:9]
	v_mul_f64 v[8:9], v[168:169], s[30:31]
	v_add_f64 v[22:23], v[22:23], v[26:27]
	v_fma_f64 v[26:27], s[14:15], v[58:59], v[8:9]
	v_fma_f64 v[8:9], v[58:59], s[14:15], -v[8:9]
	v_add_f64 v[30:31], v[8:9], v[180:181]
	v_mul_f64 v[8:9], v[166:167], s[42:43]
	v_add_f64 v[26:27], v[26:27], v[10:11]
	v_fma_f64 v[10:11], v[56:57], s[26:27], -v[8:9]
	v_add_f64 v[32:33], v[10:11], v[182:183]
	v_mul_f64 v[10:11], v[168:169], s[42:43]
	v_fmac_f64_e32 v[8:9], s[26:27], v[56:57]
	v_add_f64 v[36:37], v[8:9], v[186:187]
	v_fma_f64 v[8:9], v[58:59], s[26:27], -v[10:11]
	v_add_f64 v[38:39], v[8:9], v[188:189]
	v_mul_f64 v[8:9], v[166:167], s[34:35]
	v_fma_f64 v[34:35], s[26:27], v[58:59], v[10:11]
	v_fma_f64 v[10:11], v[56:57], s[20:21], -v[8:9]
	v_add_f64 v[40:41], v[10:11], v[40:41]
	v_mul_f64 v[10:11], v[168:169], s[34:35]
	v_fmac_f64_e32 v[8:9], s[20:21], v[56:57]
	v_add_f64 v[44:45], v[8:9], v[44:45]
	v_fma_f64 v[8:9], v[58:59], s[20:21], -v[10:11]
	v_add_f64 v[46:47], v[8:9], v[46:47]
	v_mul_f64 v[8:9], v[166:167], s[16:17]
	v_fma_f64 v[174:175], s[20:21], v[58:59], v[10:11]
	v_fma_f64 v[10:11], v[56:57], s[2:3], -v[8:9]
	v_fmac_f64_e32 v[28:29], s[14:15], v[56:57]
	v_add_f64 v[48:49], v[10:11], v[48:49]
	v_mul_f64 v[10:11], v[168:169], s[16:17]
	v_fmac_f64_e32 v[8:9], s[2:3], v[56:57]
	v_add_f64 v[56:57], v[158:159], v[162:163]
	v_add_f64 v[158:159], v[158:159], -v[162:163]
	v_fma_f64 v[166:167], s[2:3], v[58:59], v[10:11]
	v_add_f64 v[52:53], v[8:9], v[52:53]
	v_fma_f64 v[8:9], v[58:59], s[2:3], -v[10:11]
	v_add_f64 v[58:59], v[160:161], v[164:165]
	v_add_f64 v[160:161], v[160:161], -v[164:165]
	v_mul_f64 v[162:163], v[158:159], s[28:29]
	v_add_f64 v[54:55], v[8:9], v[54:55]
	v_fma_f64 v[8:9], v[58:59], s[26:27], -v[162:163]
	v_mul_f64 v[164:165], v[160:161], s[28:29]
	v_fmac_f64_e32 v[162:163], s[26:27], v[58:59]
	v_add_f64 v[12:13], v[162:163], v[12:13]
	v_fma_f64 v[162:163], v[56:57], s[26:27], -v[164:165]
	v_add_f64 v[14:15], v[162:163], v[14:15]
	v_mul_f64 v[162:163], v[158:159], s[34:35]
	v_fma_f64 v[10:11], s[26:27], v[56:57], v[164:165]
	v_fma_f64 v[164:165], v[58:59], s[20:21], -v[162:163]
	v_add_f64 v[16:17], v[164:165], v[16:17]
	v_mul_f64 v[164:165], v[160:161], s[34:35]
	v_fmac_f64_e32 v[162:163], s[20:21], v[58:59]
	v_add_f64 v[20:21], v[162:163], v[20:21]
	v_fma_f64 v[162:163], v[56:57], s[20:21], -v[164:165]
	v_add_f64 v[22:23], v[162:163], v[22:23]
	v_mul_f64 v[162:163], v[158:159], s[24:25]
	v_add_f64 v[50:51], v[166:167], v[50:51]
	v_fma_f64 v[166:167], s[20:21], v[56:57], v[164:165]
	v_fma_f64 v[164:165], v[58:59], s[22:23], -v[162:163]
	v_add_f64 v[28:29], v[28:29], v[178:179]
	v_add_f64 v[24:25], v[164:165], v[24:25]
	v_mul_f64 v[164:165], v[160:161], s[24:25]
	v_fmac_f64_e32 v[162:163], s[22:23], v[58:59]
	v_add_f64 v[28:29], v[162:163], v[28:29]
	v_fma_f64 v[162:163], v[56:57], s[22:23], -v[164:165]
	v_add_f64 v[30:31], v[162:163], v[30:31]
	v_mul_f64 v[162:163], v[158:159], s[38:39]
	v_add_f64 v[18:19], v[166:167], v[18:19]
	v_fma_f64 v[166:167], s[22:23], v[56:57], v[164:165]
	v_fma_f64 v[164:165], v[58:59], s[14:15], -v[162:163]
	v_add_f64 v[32:33], v[164:165], v[32:33]
	v_mul_f64 v[164:165], v[160:161], s[38:39]
	v_fmac_f64_e32 v[162:163], s[14:15], v[58:59]
	v_add_f64 v[36:37], v[162:163], v[36:37]
	v_fma_f64 v[162:163], v[56:57], s[14:15], -v[164:165]
	v_add_f64 v[38:39], v[162:163], v[38:39]
	v_mul_f64 v[162:163], v[158:159], s[16:17]
	v_add_f64 v[26:27], v[166:167], v[26:27]
	v_fma_f64 v[166:167], s[14:15], v[56:57], v[164:165]
	v_fma_f64 v[164:165], v[58:59], s[2:3], -v[162:163]
	v_add_f64 v[40:41], v[164:165], v[40:41]
	v_mul_f64 v[164:165], v[160:161], s[16:17]
	v_fmac_f64_e32 v[162:163], s[2:3], v[58:59]
	v_add_f64 v[44:45], v[162:163], v[44:45]
	v_fma_f64 v[162:163], v[56:57], s[2:3], -v[164:165]
	v_mul_f64 v[158:159], v[158:159], s[18:19]
	v_add_f64 v[34:35], v[34:35], v[184:185]
	v_add_f64 v[46:47], v[162:163], v[46:47]
	v_fma_f64 v[162:163], v[58:59], s[0:1], -v[158:159]
	v_mul_f64 v[160:161], v[160:161], s[18:19]
	v_add_f64 v[34:35], v[166:167], v[34:35]
	v_fma_f64 v[166:167], s[2:3], v[56:57], v[164:165]
	v_add_f64 v[48:49], v[162:163], v[48:49]
	v_fma_f64 v[162:163], s[0:1], v[56:57], v[160:161]
	v_fma_f64 v[56:57], v[56:57], s[0:1], -v[160:161]
	v_fmac_f64_e32 v[158:159], s[0:1], v[58:59]
	v_add_f64 v[54:55], v[56:57], v[54:55]
	v_add_f64 v[56:57], v[4:5], v[102:103]
	v_add_f64 v[58:59], v[6:7], v[100:101]
	v_add_f64 v[56:57], v[56:57], v[94:95]
	v_add_f64 v[58:59], v[58:59], v[92:93]
	v_add_f64 v[56:57], v[56:57], v[86:87]
	v_add_f64 v[58:59], v[58:59], v[84:85]
	v_add_f64 v[56:57], v[56:57], v[78:79]
	v_add_f64 v[58:59], v[58:59], v[76:77]
	v_add_f64 v[56:57], v[56:57], v[70:71]
	v_add_f64 v[58:59], v[58:59], v[68:69]
	v_add_f64 v[56:57], v[56:57], v[62:63]
	v_add_f64 v[58:59], v[58:59], v[60:61]
	v_add_f64 v[56:57], v[56:57], v[66:67]
	v_add_f64 v[58:59], v[58:59], v[64:65]
	v_add_f64 v[56:57], v[56:57], v[74:75]
	v_add_f64 v[58:59], v[58:59], v[72:73]
	v_add_f64 v[56:57], v[56:57], v[82:83]
	v_add_f64 v[58:59], v[58:59], v[80:81]
	v_add_f64 v[56:57], v[56:57], v[90:91]
	v_add_f64 v[58:59], v[58:59], v[88:89]
	v_add_f64 v[56:57], v[56:57], v[98:99]
	v_add_f64 v[58:59], v[58:59], v[96:97]
	v_add_f64 v[178:179], v[102:103], -v[156:157]
	v_add_f64 v[180:181], v[100:101], -v[154:155]
	v_add_f64 v[42:43], v[174:175], v[42:43]
	v_add_f64 v[8:9], v[8:9], v[170:171]
	;; [unrolled: 1-line block ×8, first 2 shown]
	v_mul_f64 v[154:155], v[180:181], s[44:45]
	v_mul_f64 v[156:157], v[178:179], s[44:45]
	;; [unrolled: 1-line block ×12, first 2 shown]
	v_add_f64 v[42:43], v[166:167], v[42:43]
	v_add_f64 v[52:53], v[158:159], v[52:53]
	v_fma_f64 v[100:101], v[174:175], s[20:21], -v[154:155]
	v_fma_f64 v[102:103], s[20:21], v[176:177], v[156:157]
	v_fmac_f64_e32 v[154:155], s[20:21], v[174:175]
	v_fma_f64 v[156:157], v[176:177], s[20:21], -v[156:157]
	v_fma_f64 v[158:159], v[174:175], s[14:15], -v[162:163]
	v_fma_f64 v[160:161], s[14:15], v[176:177], v[164:165]
	v_fmac_f64_e32 v[162:163], s[14:15], v[174:175]
	v_fma_f64 v[164:165], v[176:177], s[14:15], -v[164:165]
	;; [unrolled: 4-line block ×6, first 2 shown]
	v_add_f64 v[176:177], v[92:93], v[96:97]
	v_add_f64 v[92:93], v[92:93], -v[96:97]
	v_add_f64 v[102:103], v[6:7], v[102:103]
	v_add_f64 v[156:157], v[6:7], v[156:157]
	;; [unrolled: 1-line block ×13, first 2 shown]
	v_mul_f64 v[96:97], v[92:93], s[30:31]
	v_add_f64 v[100:101], v[4:5], v[100:101]
	v_add_f64 v[94:95], v[94:95], -v[98:99]
	v_fma_f64 v[98:99], v[174:175], s[14:15], -v[96:97]
	v_add_f64 v[154:155], v[4:5], v[154:155]
	v_add_f64 v[98:99], v[98:99], v[100:101]
	v_mul_f64 v[100:101], v[94:95], s[30:31]
	v_fmac_f64_e32 v[96:97], s[14:15], v[174:175]
	v_fma_f64 v[178:179], s[14:15], v[176:177], v[100:101]
	v_add_f64 v[96:97], v[96:97], v[154:155]
	v_fma_f64 v[100:101], v[176:177], s[14:15], -v[100:101]
	v_mul_f64 v[154:155], v[92:93], s[16:17]
	v_add_f64 v[158:159], v[4:5], v[158:159]
	v_add_f64 v[100:101], v[100:101], v[156:157]
	v_fma_f64 v[156:157], v[174:175], s[2:3], -v[154:155]
	v_add_f64 v[162:163], v[4:5], v[162:163]
	v_add_f64 v[156:157], v[156:157], v[158:159]
	v_mul_f64 v[158:159], v[94:95], s[16:17]
	v_fmac_f64_e32 v[154:155], s[2:3], v[174:175]
	v_add_f64 v[102:103], v[178:179], v[102:103]
	v_fma_f64 v[178:179], s[2:3], v[176:177], v[158:159]
	v_add_f64 v[154:155], v[154:155], v[162:163]
	v_fma_f64 v[158:159], v[176:177], s[2:3], -v[158:159]
	v_mul_f64 v[162:163], v[92:93], s[28:29]
	v_add_f64 v[166:167], v[4:5], v[166:167]
	v_add_f64 v[158:159], v[158:159], v[164:165]
	v_fma_f64 v[164:165], v[174:175], s[26:27], -v[162:163]
	v_add_f64 v[170:171], v[4:5], v[170:171]
	v_add_f64 v[164:165], v[164:165], v[166:167]
	v_mul_f64 v[166:167], v[94:95], s[28:29]
	v_fmac_f64_e32 v[162:163], s[26:27], v[174:175]
	v_add_f64 v[160:161], v[178:179], v[160:161]
	v_fma_f64 v[178:179], s[26:27], v[176:177], v[166:167]
	v_add_f64 v[162:163], v[162:163], v[170:171]
	v_fma_f64 v[166:167], v[176:177], s[26:27], -v[166:167]
	v_mul_f64 v[170:171], v[92:93], s[40:41]
	v_add_f64 v[182:183], v[4:5], v[182:183]
	v_add_f64 v[166:167], v[166:167], v[172:173]
	v_fma_f64 v[172:173], v[174:175], s[22:23], -v[170:171]
	v_fmac_f64_e32 v[170:171], s[22:23], v[174:175]
	v_add_f64 v[184:185], v[4:5], v[184:185]
	v_add_f64 v[168:169], v[178:179], v[168:169]
	v_mul_f64 v[178:179], v[94:95], s[40:41]
	v_add_f64 v[170:171], v[170:171], v[182:183]
	v_mul_f64 v[182:183], v[92:93], s[18:19]
	v_add_f64 v[192:193], v[4:5], v[192:193]
	v_add_f64 v[190:191], v[4:5], v[190:191]
	;; [unrolled: 1-line block ×5, first 2 shown]
	v_fma_f64 v[180:181], s[22:23], v[176:177], v[178:179]
	v_fma_f64 v[178:179], v[176:177], s[22:23], -v[178:179]
	v_fma_f64 v[184:185], v[174:175], s[0:1], -v[182:183]
	v_fmac_f64_e32 v[182:183], s[0:1], v[174:175]
	v_mul_f64 v[92:93], v[92:93], s[34:35]
	v_add_f64 v[178:179], v[178:179], v[186:187]
	v_mul_f64 v[186:187], v[94:95], s[18:19]
	v_add_f64 v[182:183], v[182:183], v[190:191]
	v_fma_f64 v[190:191], v[174:175], s[20:21], -v[92:93]
	v_mul_f64 v[94:95], v[94:95], s[34:35]
	v_fmac_f64_e32 v[92:93], s[20:21], v[174:175]
	v_add_f64 v[184:185], v[184:185], v[192:193]
	v_fma_f64 v[192:193], s[20:21], v[176:177], v[94:95]
	v_add_f64 v[4:5], v[92:93], v[4:5]
	v_fma_f64 v[92:93], v[176:177], s[20:21], -v[94:95]
	v_add_f64 v[94:95], v[84:85], v[88:89]
	v_add_f64 v[84:85], v[84:85], -v[88:89]
	v_add_f64 v[6:7], v[92:93], v[6:7]
	v_add_f64 v[92:93], v[86:87], v[90:91]
	v_mul_f64 v[88:89], v[84:85], s[36:37]
	v_add_f64 v[86:87], v[86:87], -v[90:91]
	v_fma_f64 v[90:91], v[92:93], s[0:1], -v[88:89]
	v_add_f64 v[90:91], v[90:91], v[98:99]
	v_mul_f64 v[98:99], v[86:87], s[36:37]
	v_fmac_f64_e32 v[88:89], s[0:1], v[92:93]
	v_fma_f64 v[174:175], s[0:1], v[94:95], v[98:99]
	v_add_f64 v[88:89], v[88:89], v[96:97]
	v_fma_f64 v[96:97], v[94:95], s[0:1], -v[98:99]
	v_mul_f64 v[98:99], v[84:85], s[28:29]
	v_add_f64 v[96:97], v[96:97], v[100:101]
	v_fma_f64 v[100:101], v[92:93], s[26:27], -v[98:99]
	v_add_f64 v[100:101], v[100:101], v[156:157]
	v_mul_f64 v[156:157], v[86:87], s[28:29]
	v_fmac_f64_e32 v[98:99], s[26:27], v[92:93]
	v_add_f64 v[102:103], v[174:175], v[102:103]
	v_fma_f64 v[174:175], s[26:27], v[94:95], v[156:157]
	v_add_f64 v[98:99], v[98:99], v[154:155]
	v_fma_f64 v[154:155], v[94:95], s[26:27], -v[156:157]
	v_mul_f64 v[156:157], v[84:85], s[46:47]
	v_add_f64 v[154:155], v[154:155], v[158:159]
	v_fma_f64 v[158:159], v[92:93], s[2:3], -v[156:157]
	v_add_f64 v[158:159], v[158:159], v[164:165]
	v_mul_f64 v[164:165], v[86:87], s[46:47]
	v_fmac_f64_e32 v[156:157], s[2:3], v[92:93]
	v_add_f64 v[160:161], v[174:175], v[160:161]
	;; [unrolled: 10-line block ×3, first 2 shown]
	v_fma_f64 v[174:175], s[20:21], v[94:95], v[172:173]
	v_add_f64 v[164:165], v[164:165], v[170:171]
	v_fma_f64 v[170:171], v[94:95], s[20:21], -v[172:173]
	v_mul_f64 v[172:173], v[84:85], s[30:31]
	v_add_f64 v[180:181], v[180:181], v[188:189]
	v_fma_f64 v[188:189], s[0:1], v[176:177], v[186:187]
	v_fma_f64 v[186:187], v[176:177], s[0:1], -v[186:187]
	v_fma_f64 v[176:177], v[92:93], s[14:15], -v[172:173]
	v_fmac_f64_e32 v[172:173], s[14:15], v[92:93]
	v_mul_f64 v[84:85], v[84:85], s[24:25]
	v_add_f64 v[170:171], v[170:171], v[178:179]
	v_mul_f64 v[178:179], v[86:87], s[30:31]
	v_add_f64 v[172:173], v[172:173], v[182:183]
	v_fma_f64 v[182:183], v[92:93], s[22:23], -v[84:85]
	v_mul_f64 v[86:87], v[86:87], s[24:25]
	v_fmac_f64_e32 v[84:85], s[22:23], v[92:93]
	v_add_f64 v[176:177], v[176:177], v[184:185]
	v_fma_f64 v[184:185], s[22:23], v[94:95], v[86:87]
	v_add_f64 v[4:5], v[84:85], v[4:5]
	v_fma_f64 v[84:85], v[94:95], s[22:23], -v[86:87]
	v_add_f64 v[86:87], v[76:77], v[80:81]
	v_add_f64 v[76:77], v[76:77], -v[80:81]
	v_add_f64 v[6:7], v[84:85], v[6:7]
	v_add_f64 v[84:85], v[78:79], v[82:83]
	v_mul_f64 v[80:81], v[76:77], s[16:17]
	v_add_f64 v[78:79], v[78:79], -v[82:83]
	v_fma_f64 v[82:83], v[84:85], s[2:3], -v[80:81]
	v_add_f64 v[82:83], v[82:83], v[90:91]
	v_mul_f64 v[90:91], v[78:79], s[16:17]
	v_fmac_f64_e32 v[80:81], s[2:3], v[84:85]
	v_fma_f64 v[92:93], s[2:3], v[86:87], v[90:91]
	v_add_f64 v[80:81], v[80:81], v[88:89]
	v_fma_f64 v[88:89], v[86:87], s[2:3], -v[90:91]
	v_mul_f64 v[90:91], v[76:77], s[40:41]
	v_add_f64 v[174:175], v[174:175], v[180:181]
	v_fma_f64 v[180:181], s[14:15], v[94:95], v[178:179]
	v_fma_f64 v[178:179], v[94:95], s[14:15], -v[178:179]
	v_add_f64 v[88:89], v[88:89], v[96:97]
	v_fma_f64 v[94:95], v[84:85], s[22:23], -v[90:91]
	v_mul_f64 v[96:97], v[78:79], s[40:41]
	v_fmac_f64_e32 v[90:91], s[22:23], v[84:85]
	v_add_f64 v[94:95], v[94:95], v[100:101]
	v_fma_f64 v[100:101], s[22:23], v[86:87], v[96:97]
	v_add_f64 v[90:91], v[90:91], v[98:99]
	v_fma_f64 v[96:97], v[86:87], s[22:23], -v[96:97]
	v_mul_f64 v[98:99], v[76:77], s[34:35]
	v_add_f64 v[92:93], v[92:93], v[102:103]
	v_add_f64 v[96:97], v[96:97], v[154:155]
	v_fma_f64 v[102:103], v[84:85], s[20:21], -v[98:99]
	v_mul_f64 v[154:155], v[78:79], s[34:35]
	v_fmac_f64_e32 v[98:99], s[20:21], v[84:85]
	v_add_f64 v[102:103], v[102:103], v[158:159]
	v_fma_f64 v[158:159], s[20:21], v[86:87], v[154:155]
	v_add_f64 v[98:99], v[98:99], v[156:157]
	v_fma_f64 v[154:155], v[86:87], s[20:21], -v[154:155]
	v_mul_f64 v[156:157], v[76:77], s[36:37]
	v_add_f64 v[192:193], v[192:193], v[200:201]
	v_add_f64 v[100:101], v[100:101], v[160:161]
	v_add_f64 v[154:155], v[154:155], v[162:163]
	v_fma_f64 v[160:161], v[84:85], s[0:1], -v[156:157]
	v_mul_f64 v[162:163], v[78:79], s[36:37]
	v_add_f64 v[188:189], v[188:189], v[196:197]
	v_add_f64 v[186:187], v[186:187], v[194:195]
	;; [unrolled: 1-line block ×4, first 2 shown]
	v_fma_f64 v[166:167], s[0:1], v[86:87], v[162:163]
	v_fma_f64 v[162:163], v[86:87], s[0:1], -v[162:163]
	v_add_f64 v[192:193], v[68:69], -v[72:73]
	v_add_f64 v[190:191], v[190:191], v[198:199]
	v_add_f64 v[180:181], v[180:181], v[188:189]
	;; [unrolled: 1-line block ×3, first 2 shown]
	v_fmac_f64_e32 v[156:157], s[0:1], v[84:85]
	v_add_f64 v[170:171], v[162:163], v[170:171]
	v_mul_f64 v[162:163], v[76:77], s[42:43]
	v_add_f64 v[186:187], v[70:71], v[74:75]
	v_add_f64 v[188:189], v[68:69], v[72:73]
	v_mul_f64 v[68:69], v[192:193], s[24:25]
	v_add_f64 v[182:183], v[182:183], v[190:191]
	v_add_f64 v[156:157], v[156:157], v[164:165]
	v_fma_f64 v[164:165], v[84:85], s[26:27], -v[162:163]
	v_add_f64 v[190:191], v[70:71], -v[74:75]
	v_fma_f64 v[70:71], v[186:187], s[22:23], -v[68:69]
	v_add_f64 v[176:177], v[164:165], v[176:177]
	v_mul_f64 v[164:165], v[78:79], s[42:43]
	v_add_f64 v[194:195], v[70:71], v[82:83]
	v_mul_f64 v[70:71], v[190:191], s[24:25]
	v_fmac_f64_e32 v[68:69], s[22:23], v[186:187]
	v_add_f64 v[158:159], v[158:159], v[168:169]
	v_add_f64 v[174:175], v[166:167], v[174:175]
	v_fma_f64 v[166:167], s[26:27], v[86:87], v[164:165]
	v_fmac_f64_e32 v[162:163], s[26:27], v[84:85]
	v_add_f64 v[168:169], v[68:69], v[80:81]
	v_fma_f64 v[68:69], v[188:189], s[22:23], -v[70:71]
	v_add_f64 v[180:181], v[166:167], v[180:181]
	v_add_f64 v[172:173], v[162:163], v[172:173]
	v_fma_f64 v[162:163], v[86:87], s[26:27], -v[164:165]
	v_mul_f64 v[76:77], v[76:77], s[38:39]
	v_add_f64 v[166:167], v[68:69], v[88:89]
	v_mul_f64 v[68:69], v[192:193], s[18:19]
	v_add_f64 v[178:179], v[162:163], v[178:179]
	v_fma_f64 v[162:163], v[84:85], s[14:15], -v[76:77]
	v_mul_f64 v[78:79], v[78:79], s[38:39]
	v_fmac_f64_e32 v[76:77], s[14:15], v[84:85]
	v_fma_f64 v[72:73], s[22:23], v[188:189], v[70:71]
	v_fma_f64 v[70:71], v[186:187], s[0:1], -v[68:69]
	v_add_f64 v[4:5], v[76:77], v[4:5]
	v_fma_f64 v[76:77], v[86:87], s[14:15], -v[78:79]
	v_add_f64 v[164:165], v[70:71], v[94:95]
	v_mul_f64 v[70:71], v[190:191], s[18:19]
	v_add_f64 v[182:183], v[162:163], v[182:183]
	v_fma_f64 v[162:163], s[14:15], v[86:87], v[78:79]
	v_add_f64 v[6:7], v[76:77], v[6:7]
	v_add_f64 v[196:197], v[72:73], v[92:93]
	v_fma_f64 v[72:73], s[0:1], v[188:189], v[70:71]
	v_fma_f64 v[70:71], v[188:189], s[0:1], -v[70:71]
	v_mul_f64 v[76:77], v[192:193], s[30:31]
	v_mul_f64 v[78:79], v[190:191], s[30:31]
	v_add_f64 v[184:185], v[162:163], v[184:185]
	v_add_f64 v[162:163], v[72:73], v[100:101]
	;; [unrolled: 1-line block ×3, first 2 shown]
	v_fma_f64 v[72:73], v[186:187], s[14:15], -v[76:77]
	v_fma_f64 v[74:75], s[14:15], v[188:189], v[78:79]
	v_fmac_f64_e32 v[76:77], s[14:15], v[186:187]
	v_fma_f64 v[78:79], v[188:189], s[14:15], -v[78:79]
	v_mul_f64 v[96:97], v[192:193], s[16:17]
	v_add_f64 v[76:77], v[76:77], v[98:99]
	v_add_f64 v[78:79], v[78:79], v[154:155]
	v_mul_f64 v[84:85], v[192:193], s[42:43]
	v_fma_f64 v[98:99], v[186:187], s[2:3], -v[96:97]
	v_mul_f64 v[154:155], v[190:191], s[16:17]
	v_add_f64 v[72:73], v[72:73], v[102:103]
	v_add_f64 v[74:75], v[74:75], v[158:159]
	v_fma_f64 v[80:81], v[186:187], s[26:27], -v[84:85]
	v_fmac_f64_e32 v[84:85], s[26:27], v[186:187]
	v_add_f64 v[102:103], v[98:99], v[182:183]
	v_fma_f64 v[98:99], s[2:3], v[188:189], v[154:155]
	v_fmac_f64_e32 v[96:97], s[2:3], v[186:187]
	v_add_f64 v[158:159], v[62:63], -v[66:67]
	v_add_f64 v[84:85], v[84:85], v[156:157]
	v_add_f64 v[100:101], v[98:99], v[184:185]
	;; [unrolled: 1-line block ×3, first 2 shown]
	v_fma_f64 v[4:5], v[188:189], s[2:3], -v[154:155]
	v_add_f64 v[156:157], v[62:63], v[66:67]
	v_add_f64 v[154:155], v[60:61], v[64:65]
	v_mul_f64 v[62:63], v[158:159], s[28:29]
	v_add_f64 v[80:81], v[80:81], v[160:161]
	v_add_f64 v[96:97], v[4:5], v[6:7]
	v_add_f64 v[160:161], v[60:61], -v[64:65]
	v_fma_f64 v[6:7], s[26:27], v[154:155], v[62:63]
	v_fma_f64 v[62:63], v[154:155], s[26:27], -v[62:63]
	v_add_f64 v[62:63], v[62:63], v[166:167]
	v_mul_f64 v[166:167], v[160:161], s[34:35]
	v_fma_f64 v[64:65], v[156:157], s[20:21], -v[166:167]
	v_add_f64 v[64:65], v[64:65], v[164:165]
	v_mul_f64 v[164:165], v[158:159], s[34:35]
	v_fma_f64 v[66:67], s[20:21], v[154:155], v[164:165]
	v_add_f64 v[66:67], v[66:67], v[162:163]
	v_fma_f64 v[162:163], v[154:155], s[20:21], -v[164:165]
	v_add_f64 v[70:71], v[162:163], v[70:71]
	v_mul_f64 v[162:163], v[160:161], s[24:25]
	v_fma_f64 v[164:165], v[156:157], s[22:23], -v[162:163]
	v_add_f64 v[72:73], v[164:165], v[72:73]
	v_mul_f64 v[164:165], v[158:159], s[24:25]
	v_fmac_f64_e32 v[162:163], s[22:23], v[156:157]
	v_fmac_f64_e32 v[68:69], s[0:1], v[186:187]
	v_add_f64 v[76:77], v[162:163], v[76:77]
	v_fma_f64 v[162:163], v[154:155], s[22:23], -v[164:165]
	v_add_f64 v[68:69], v[68:69], v[90:91]
	v_fmac_f64_e32 v[166:167], s[20:21], v[156:157]
	v_add_f64 v[78:79], v[162:163], v[78:79]
	v_mul_f64 v[162:163], v[160:161], s[38:39]
	v_mul_f64 v[86:87], v[190:191], s[42:43]
	v_add_f64 v[68:69], v[166:167], v[68:69]
	v_fma_f64 v[166:167], s[22:23], v[154:155], v[164:165]
	v_fma_f64 v[164:165], v[156:157], s[14:15], -v[162:163]
	v_fma_f64 v[82:83], s[26:27], v[188:189], v[86:87]
	v_fma_f64 v[86:87], v[188:189], s[26:27], -v[86:87]
	v_add_f64 v[80:81], v[164:165], v[80:81]
	v_mul_f64 v[164:165], v[158:159], s[38:39]
	v_fmac_f64_e32 v[162:163], s[14:15], v[156:157]
	v_add_f64 v[86:87], v[86:87], v[170:171]
	v_mul_f64 v[92:93], v[192:193], s[34:35]
	v_add_f64 v[84:85], v[162:163], v[84:85]
	v_fma_f64 v[162:163], v[154:155], s[14:15], -v[164:165]
	v_fma_f64 v[88:89], v[186:187], s[20:21], -v[92:93]
	v_add_f64 v[86:87], v[162:163], v[86:87]
	v_mul_f64 v[162:163], v[160:161], s[16:17]
	v_add_f64 v[88:89], v[88:89], v[176:177]
	v_fmac_f64_e32 v[92:93], s[20:21], v[186:187]
	v_add_f64 v[74:75], v[166:167], v[74:75]
	v_fma_f64 v[166:167], s[14:15], v[154:155], v[164:165]
	v_fma_f64 v[164:165], v[156:157], s[2:3], -v[162:163]
	v_add_f64 v[82:83], v[82:83], v[174:175]
	v_add_f64 v[92:93], v[92:93], v[172:173]
	;; [unrolled: 1-line block ×3, first 2 shown]
	v_mul_f64 v[164:165], v[158:159], s[16:17]
	v_fmac_f64_e32 v[162:163], s[2:3], v[156:157]
	v_add_f64 v[82:83], v[166:167], v[82:83]
	v_fma_f64 v[166:167], s[2:3], v[154:155], v[164:165]
	v_add_f64 v[92:93], v[162:163], v[92:93]
	v_fma_f64 v[162:163], v[154:155], s[2:3], -v[164:165]
	v_mul_f64 v[164:165], v[160:161], s[18:19]
	v_mul_f64 v[94:95], v[190:191], s[34:35]
	;; [unrolled: 1-line block ×3, first 2 shown]
	v_fma_f64 v[160:161], v[156:157], s[0:1], -v[164:165]
	v_fma_f64 v[90:91], s[20:21], v[188:189], v[94:95]
	v_fma_f64 v[94:95], v[188:189], s[20:21], -v[94:95]
	v_add_f64 v[160:161], v[160:161], v[102:103]
	v_mul_f64 v[102:103], v[158:159], s[18:19]
	v_add_f64 v[94:95], v[94:95], v[178:179]
	v_fma_f64 v[158:159], s[0:1], v[154:155], v[102:103]
	v_add_f64 v[94:95], v[162:163], v[94:95]
	v_add_f64 v[162:163], v[158:159], v[100:101]
	v_fma_f64 v[100:101], v[154:155], s[0:1], -v[102:103]
	v_add_f64 v[100:101], v[100:101], v[96:97]
	v_lshrrev_b32_e32 v96, 1, v206
	v_mul_u32_u24_e32 v96, 26, v96
	v_or_b32_e32 v96, v96, v153
	v_lshlrev_b32_e32 v205, 4, v96
	ds_write_b128 v205, v[0:3]
	ds_write_b128 v205, v[8:11] offset:32
	ds_write_b128 v205, v[16:19] offset:64
	;; [unrolled: 1-line block ×12, first 2 shown]
	v_lshrrev_b32_e32 v0, 1, v152
	v_mul_u32_u24_e32 v0, 26, v0
	v_add_f64 v[90:91], v[90:91], v[180:181]
	v_fma_f64 v[4:5], v[156:157], s[26:27], -v[60:61]
	v_fmac_f64_e32 v[60:61], s[26:27], v[156:157]
	v_fmac_f64_e32 v[164:165], s[0:1], v[156:157]
	v_or_b32_e32 v0, v0, v153
	v_mul_hi_i32_i24_e32 v155, 0xc0, v207
	v_mul_i32_i24_e32 v154, 0xc0, v207
	v_add_f64 v[4:5], v[4:5], v[194:195]
	v_add_f64 v[6:7], v[6:7], v[196:197]
	;; [unrolled: 1-line block ×5, first 2 shown]
	v_lshlrev_b32_e32 v240, 4, v0
	v_lshl_add_u64 v[154:155], s[10:11], 0, v[154:155]
	ds_write_b128 v240, v[56:59]
	ds_write_b128 v240, v[4:7] offset:32
	ds_write_b128 v240, v[64:67] offset:64
	;; [unrolled: 1-line block ×12, first 2 shown]
	s_waitcnt lgkmcnt(0)
	; wave barrier
	s_waitcnt lgkmcnt(0)
	ds_read_b128 v[8:11], v204
	ds_read_b128 v[100:103], v204 offset:1664
	ds_read_b128 v[96:99], v204 offset:3328
	;; [unrolled: 1-line block ×25, first 2 shown]
	global_load_dwordx4 v[158:161], v[154:155], off offset:432
	global_load_dwordx4 v[166:169], v[154:155], off offset:416
	;; [unrolled: 1-line block ×4, first 2 shown]
	s_waitcnt vmcnt(3)
	v_accvgpr_write_b32 a110, v158
	s_waitcnt vmcnt(2) lgkmcnt(14)
	v_mul_f64 v[178:179], v[92:93], v[168:169]
	s_waitcnt vmcnt(1)
	v_mul_f64 v[186:187], v[96:97], v[172:173]
	s_waitcnt vmcnt(0)
	v_mul_f64 v[156:157], v[102:103], v[176:177]
	v_fma_f64 v[194:195], v[100:101], v[174:175], -v[156:157]
	v_mul_f64 v[164:165], v[100:101], v[176:177]
	v_mul_f64 v[100:101], v[98:99], v[172:173]
	v_fma_f64 v[188:189], v[96:97], v[170:171], -v[100:101]
	v_accvgpr_write_b32 a118, v170
	v_mul_f64 v[96:97], v[94:95], v[168:169]
	v_accvgpr_write_b32 a119, v171
	v_accvgpr_write_b32 a120, v172
	;; [unrolled: 1-line block ×3, first 2 shown]
	v_fmac_f64_e32 v[186:187], v[98:99], v[170:171]
	v_fma_f64 v[180:181], v[92:93], v[166:167], -v[96:97]
	v_mul_f64 v[92:93], v[90:91], v[160:161]
	v_mul_f64 v[170:171], v[88:89], v[160:161]
	v_fmac_f64_e32 v[178:179], v[94:95], v[166:167]
	v_fma_f64 v[172:173], v[88:89], v[158:159], -v[92:93]
	v_accvgpr_write_b32 a111, v159
	v_accvgpr_write_b32 a112, v160
	;; [unrolled: 1-line block ×3, first 2 shown]
	v_fmac_f64_e32 v[170:171], v[90:91], v[158:159]
	global_load_dwordx4 v[90:93], v[154:155], off offset:496
	global_load_dwordx4 v[94:97], v[154:155], off offset:480
	;; [unrolled: 1-line block ×4, first 2 shown]
	v_accvgpr_write_b32 a114, v166
	v_accvgpr_write_b32 a115, v167
	;; [unrolled: 1-line block ×8, first 2 shown]
	v_fmac_f64_e32 v[164:165], v[102:103], v[174:175]
	s_waitcnt vmcnt(3)
	v_mul_f64 v[174:175], v[72:73], v[92:93]
	s_waitcnt vmcnt(2)
	v_mul_f64 v[160:161], v[76:77], v[96:97]
	v_fmac_f64_e32 v[160:161], v[78:79], v[94:95]
	s_waitcnt vmcnt(0)
	v_mul_f64 v[88:89], v[86:87], v[158:159]
	v_fma_f64 v[168:169], v[84:85], v[156:157], -v[88:89]
	v_mul_f64 v[166:167], v[84:85], v[158:159]
	v_accvgpr_write_b32 a138, v156
	v_mul_f64 v[84:85], v[82:83], v[100:101]
	v_accvgpr_write_b32 a139, v157
	v_accvgpr_write_b32 a140, v158
	;; [unrolled: 1-line block ×3, first 2 shown]
	v_fmac_f64_e32 v[166:167], v[86:87], v[156:157]
	v_fma_f64 v[158:159], v[80:81], v[98:99], -v[84:85]
	v_mul_f64 v[156:157], v[80:81], v[100:101]
	v_mul_f64 v[80:81], v[78:79], v[96:97]
	v_fma_f64 v[162:163], v[76:77], v[94:95], -v[80:81]
	v_mul_f64 v[76:77], v[74:75], v[92:93]
	v_fmac_f64_e32 v[156:157], v[82:83], v[98:99]
	v_fma_f64 v[176:177], v[72:73], v[90:91], -v[76:77]
	v_fmac_f64_e32 v[174:175], v[74:75], v[90:91]
	global_load_dwordx4 v[74:77], v[154:155], off offset:560
	global_load_dwordx4 v[78:81], v[154:155], off offset:544
	;; [unrolled: 1-line block ×4, first 2 shown]
	v_accvgpr_write_b32 a133, v101
	v_accvgpr_write_b32 a132, v100
	;; [unrolled: 1-line block ×12, first 2 shown]
	s_waitcnt vmcnt(3)
	v_accvgpr_write_b32 a145, v77
	s_waitcnt vmcnt(2)
	v_mul_f64 v[196:197], v[60:61], v[80:81]
	s_waitcnt vmcnt(1)
	v_mul_f64 v[190:191], v[64:65], v[84:85]
	;; [unrolled: 2-line block ×3, first 2 shown]
	v_fma_f64 v[184:185], v[68:69], v[86:87], -v[72:73]
	v_mul_f64 v[182:183], v[68:69], v[88:89]
	v_mul_f64 v[68:69], v[66:67], v[84:85]
	v_fma_f64 v[192:193], v[64:65], v[82:83], -v[68:69]
	v_mul_f64 v[64:65], v[62:63], v[80:81]
	v_fma_f64 v[198:199], v[60:61], v[78:79], -v[64:65]
	s_waitcnt lgkmcnt(13)
	v_mul_f64 v[60:61], v[58:59], v[76:77]
	v_fma_f64 v[200:201], v[56:57], v[74:75], -v[60:61]
	v_mul_f64 v[56:57], v[56:57], v[76:77]
	v_fmac_f64_e32 v[56:57], v[58:59], v[74:75]
	v_mul_lo_u16_sdwa v58, v152, s48 dst_sel:DWORD dst_unused:UNUSED_PAD src0_sel:BYTE_0 src1_sel:DWORD
	v_lshrrev_b16_e32 v208, 11, v58
	v_mul_lo_u16_e32 v58, 26, v208
	v_sub_u16_e32 v58, v152, v58
	v_and_b32_e32 v209, 0xff, v58
	v_mov_b64_e32 v[58:59], s[10:11]
	v_mad_u64_u32 v[58:59], s[48:49], v209, s33, v[58:59]
	v_fmac_f64_e32 v[182:183], v[70:71], v[86:87]
	v_fmac_f64_e32 v[190:191], v[66:67], v[82:83]
	;; [unrolled: 1-line block ×3, first 2 shown]
	v_accvgpr_write_b32 a144, v76
	v_accvgpr_write_b32 a143, v75
	;; [unrolled: 1-line block ×3, first 2 shown]
	global_load_dwordx4 v[62:65], v[58:59], off offset:432
	global_load_dwordx4 v[66:69], v[58:59], off offset:416
	global_load_dwordx4 v[70:73], v[58:59], off offset:400
	global_load_dwordx4 v[74:77], v[58:59], off offset:384
	v_accvgpr_write_b32 a157, v89
	v_accvgpr_write_b32 a153, v85
	;; [unrolled: 1-line block ×12, first 2 shown]
	s_waitcnt vmcnt(3)
	v_accvgpr_write_b32 a161, v65
	s_waitcnt vmcnt(2) lgkmcnt(9)
	v_mul_f64 v[84:85], v[44:45], v[68:69]
	s_waitcnt vmcnt(1)
	v_mul_f64 v[92:93], v[48:49], v[72:73]
	s_waitcnt vmcnt(0)
	v_mul_f64 v[60:61], v[54:55], v[76:77]
	v_fma_f64 v[102:103], v[52:53], v[74:75], -v[60:61]
	v_mul_f64 v[100:101], v[52:53], v[76:77]
	v_mul_f64 v[52:53], v[50:51], v[72:73]
	v_accvgpr_write_b32 a173, v77
	v_fma_f64 v[94:95], v[48:49], v[70:71], -v[52:53]
	v_mul_f64 v[48:49], v[46:47], v[68:69]
	v_accvgpr_write_b32 a172, v76
	v_accvgpr_write_b32 a171, v75
	;; [unrolled: 1-line block ×3, first 2 shown]
	v_fma_f64 v[86:87], v[44:45], v[66:67], -v[48:49]
	s_waitcnt lgkmcnt(8)
	v_mul_f64 v[44:45], v[42:43], v[64:65]
	v_mul_f64 v[76:77], v[40:41], v[64:65]
	v_fmac_f64_e32 v[92:93], v[50:51], v[70:71]
	v_fmac_f64_e32 v[84:85], v[46:47], v[66:67]
	v_fma_f64 v[78:79], v[40:41], v[62:63], -v[44:45]
	v_accvgpr_write_b32 a160, v64
	v_accvgpr_write_b32 a159, v63
	;; [unrolled: 1-line block ×3, first 2 shown]
	v_fmac_f64_e32 v[76:77], v[42:43], v[62:63]
	global_load_dwordx4 v[42:45], v[58:59], off offset:496
	global_load_dwordx4 v[46:49], v[58:59], off offset:480
	;; [unrolled: 1-line block ×4, first 2 shown]
	v_accvgpr_write_b32 a169, v73
	v_accvgpr_write_b32 a165, v69
	;; [unrolled: 1-line block ×8, first 2 shown]
	v_fmac_f64_e32 v[100:101], v[54:55], v[74:75]
	s_waitcnt vmcnt(3) lgkmcnt(4)
	v_mul_f64 v[72:73], v[24:25], v[44:45]
	s_waitcnt vmcnt(2)
	v_mul_f64 v[64:65], v[28:29], v[48:49]
	v_fmac_f64_e32 v[64:65], v[30:31], v[46:47]
	s_waitcnt vmcnt(0)
	v_mul_f64 v[40:41], v[38:39], v[62:63]
	v_fma_f64 v[70:71], v[36:37], v[60:61], -v[40:41]
	v_mul_f64 v[68:69], v[36:37], v[62:63]
	v_accvgpr_write_b32 a189, v63
	v_mul_f64 v[36:37], v[34:35], v[52:53]
	v_accvgpr_write_b32 a188, v62
	v_accvgpr_write_b32 a187, v61
	;; [unrolled: 1-line block ×3, first 2 shown]
	v_fmac_f64_e32 v[68:69], v[38:39], v[60:61]
	v_fma_f64 v[62:63], v[32:33], v[50:51], -v[36:37]
	v_mul_f64 v[60:61], v[32:33], v[52:53]
	v_mul_f64 v[32:33], v[30:31], v[48:49]
	v_fma_f64 v[66:67], v[28:29], v[46:47], -v[32:33]
	v_mul_f64 v[28:29], v[26:27], v[44:45]
	v_fmac_f64_e32 v[60:61], v[34:35], v[50:51]
	v_fma_f64 v[74:75], v[24:25], v[42:43], -v[28:29]
	v_fmac_f64_e32 v[72:73], v[26:27], v[42:43]
	global_load_dwordx4 v[26:29], v[58:59], off offset:560
	global_load_dwordx4 v[30:33], v[58:59], off offset:544
	;; [unrolled: 1-line block ×4, first 2 shown]
	v_accvgpr_write_b32 a177, v45
	v_accvgpr_write_b32 a185, v53
	;; [unrolled: 1-line block ×5, first 2 shown]
	v_add_f64 v[42:43], v[164:165], -v[56:57]
	v_accvgpr_write_b32 a184, v52
	v_accvgpr_write_b32 a183, v51
	;; [unrolled: 1-line block ×4, first 2 shown]
	v_mul_f64 v[44:45], v[42:43], s[16:17]
	v_mul_f64 v[52:53], v[42:43], s[24:25]
	v_accvgpr_write_b32 a180, v48
	v_accvgpr_write_b32 a179, v47
	;; [unrolled: 1-line block ×3, first 2 shown]
	s_waitcnt lgkmcnt(0)
	; wave barrier
	s_waitcnt vmcnt(3) lgkmcnt(0)
	v_mul_f64 v[152:153], v[0:1], v[28:29]
	s_waitcnt vmcnt(2)
	v_mul_f64 v[96:97], v[12:13], v[32:33]
	s_waitcnt vmcnt(1)
	;; [unrolled: 2-line block ×3, first 2 shown]
	v_mul_f64 v[24:25], v[22:23], v[40:41]
	v_fma_f64 v[82:83], v[20:21], v[38:39], -v[24:25]
	v_mul_f64 v[80:81], v[20:21], v[40:41]
	v_mul_f64 v[20:21], v[18:19], v[36:37]
	v_fma_f64 v[90:91], v[16:17], v[34:35], -v[20:21]
	v_mul_f64 v[16:17], v[14:15], v[32:33]
	v_fma_f64 v[98:99], v[12:13], v[30:31], -v[16:17]
	v_mul_f64 v[12:13], v[2:3], v[28:29]
	v_fmac_f64_e32 v[152:153], v[2:3], v[26:27]
	v_add_f64 v[2:3], v[10:11], v[164:165]
	v_add_f64 v[2:3], v[2:3], v[186:187]
	;; [unrolled: 1-line block ×9, first 2 shown]
	v_accvgpr_write_b32 a205, v41
	v_accvgpr_write_b32 a201, v37
	;; [unrolled: 1-line block ×3, first 2 shown]
	v_add_f64 v[2:3], v[2:3], v[190:191]
	v_accvgpr_write_b32 a204, v40
	v_accvgpr_write_b32 a203, v39
	v_accvgpr_write_b32 a202, v38
	v_accvgpr_write_b32 a200, v36
	v_accvgpr_write_b32 a199, v35
	v_accvgpr_write_b32 a198, v34
	v_accvgpr_write_b32 a196, v32
	v_accvgpr_write_b32 a195, v31
	v_accvgpr_write_b32 a194, v30
	v_accvgpr_write_b32 a193, v29
	v_add_f64 v[2:3], v[2:3], v[196:197]
	v_add_f64 v[36:37], v[194:195], v[200:201]
	v_add_f64 v[40:41], v[194:195], -v[200:201]
	v_mul_f64 v[16:17], v[42:43], s[44:45]
	v_mul_f64 v[24:25], v[42:43], s[30:31]
	;; [unrolled: 1-line block ×4, first 2 shown]
	v_fmac_f64_e32 v[80:81], v[22:23], v[38:39]
	v_fmac_f64_e32 v[88:89], v[18:19], v[34:35]
	v_fma_f64 v[154:155], v[0:1], v[26:27], -v[12:13]
	v_accvgpr_write_b32 a192, v28
	v_accvgpr_write_b32 a191, v27
	;; [unrolled: 1-line block ×3, first 2 shown]
	v_add_f64 v[2:3], v[2:3], v[56:57]
	v_add_f64 v[38:39], v[164:165], v[56:57]
	v_fma_f64 v[12:13], v[36:37], s[20:21], -v[16:17]
	v_mul_f64 v[18:19], v[40:41], s[44:45]
	v_fmac_f64_e32 v[16:17], s[20:21], v[36:37]
	v_fma_f64 v[20:21], v[36:37], s[14:15], -v[24:25]
	v_mul_f64 v[26:27], v[40:41], s[30:31]
	v_fmac_f64_e32 v[24:25], s[14:15], v[36:37]
	;; [unrolled: 3-line block ×6, first 2 shown]
	v_fmac_f64_e32 v[96:97], v[14:15], v[30:31]
	v_add_f64 v[0:1], v[8:9], v[194:195]
	v_add_f64 v[12:13], v[8:9], v[12:13]
	v_fma_f64 v[14:15], s[20:21], v[38:39], v[18:19]
	v_add_f64 v[16:17], v[8:9], v[16:17]
	v_fma_f64 v[18:19], v[38:39], s[20:21], -v[18:19]
	v_add_f64 v[20:21], v[8:9], v[20:21]
	v_fma_f64 v[22:23], s[14:15], v[38:39], v[26:27]
	v_add_f64 v[24:25], v[8:9], v[24:25]
	v_fma_f64 v[26:27], v[38:39], s[14:15], -v[26:27]
	v_add_f64 v[28:29], v[8:9], v[28:29]
	v_fma_f64 v[30:31], s[0:1], v[38:39], v[34:35]
	v_add_f64 v[32:33], v[8:9], v[32:33]
	v_fma_f64 v[34:35], v[38:39], s[0:1], -v[34:35]
	v_add_f64 v[46:47], v[8:9], v[46:47]
	v_fma_f64 v[50:51], s[2:3], v[38:39], v[48:49]
	v_add_f64 v[44:45], v[8:9], v[44:45]
	v_fma_f64 v[48:49], v[38:39], s[2:3], -v[48:49]
	v_add_f64 v[54:55], v[8:9], v[54:55]
	v_fma_f64 v[58:59], s[22:23], v[38:39], v[56:57]
	v_add_f64 v[52:53], v[8:9], v[52:53]
	v_fma_f64 v[56:57], v[38:39], s[22:23], -v[56:57]
	v_add_f64 v[164:165], v[8:9], v[164:165]
	v_fma_f64 v[194:195], s[26:27], v[38:39], v[40:41]
	v_add_f64 v[8:9], v[8:9], v[42:43]
	v_fma_f64 v[36:37], v[38:39], s[26:27], -v[40:41]
	v_add_f64 v[42:43], v[186:187], -v[196:197]
	v_add_f64 v[14:15], v[10:11], v[14:15]
	v_add_f64 v[18:19], v[10:11], v[18:19]
	;; [unrolled: 1-line block ×14, first 2 shown]
	v_mul_f64 v[186:187], v[42:43], s[30:31]
	v_add_f64 v[0:1], v[0:1], v[188:189]
	v_add_f64 v[40:41], v[188:189], -v[198:199]
	v_fma_f64 v[188:189], v[36:37], s[14:15], -v[186:187]
	v_add_f64 v[12:13], v[188:189], v[12:13]
	v_mul_f64 v[188:189], v[40:41], s[30:31]
	v_fmac_f64_e32 v[186:187], s[14:15], v[36:37]
	v_add_f64 v[16:17], v[186:187], v[16:17]
	v_fma_f64 v[186:187], v[38:39], s[14:15], -v[188:189]
	v_add_f64 v[18:19], v[186:187], v[18:19]
	v_mul_f64 v[186:187], v[42:43], s[16:17]
	v_fma_f64 v[196:197], s[14:15], v[38:39], v[188:189]
	v_fma_f64 v[188:189], v[36:37], s[2:3], -v[186:187]
	v_add_f64 v[20:21], v[188:189], v[20:21]
	v_mul_f64 v[188:189], v[40:41], s[16:17]
	v_fmac_f64_e32 v[186:187], s[2:3], v[36:37]
	v_add_f64 v[24:25], v[186:187], v[24:25]
	v_fma_f64 v[186:187], v[38:39], s[2:3], -v[188:189]
	v_add_f64 v[26:27], v[186:187], v[26:27]
	v_mul_f64 v[186:187], v[42:43], s[28:29]
	v_add_f64 v[14:15], v[196:197], v[14:15]
	v_fma_f64 v[196:197], s[2:3], v[38:39], v[188:189]
	v_fma_f64 v[188:189], v[36:37], s[26:27], -v[186:187]
	v_add_f64 v[28:29], v[188:189], v[28:29]
	v_mul_f64 v[188:189], v[40:41], s[28:29]
	v_fmac_f64_e32 v[186:187], s[26:27], v[36:37]
	v_add_f64 v[32:33], v[186:187], v[32:33]
	v_fma_f64 v[186:187], v[38:39], s[26:27], -v[188:189]
	v_add_f64 v[34:35], v[186:187], v[34:35]
	v_mul_f64 v[186:187], v[42:43], s[40:41]
	v_add_f64 v[22:23], v[196:197], v[22:23]
	;; [unrolled: 10-line block ×3, first 2 shown]
	v_fma_f64 v[196:197], s[22:23], v[38:39], v[188:189]
	v_fma_f64 v[188:189], v[36:37], s[0:1], -v[186:187]
	v_add_f64 v[54:55], v[188:189], v[54:55]
	v_mul_f64 v[188:189], v[40:41], s[18:19]
	v_fmac_f64_e32 v[186:187], s[0:1], v[36:37]
	v_add_f64 v[52:53], v[186:187], v[52:53]
	v_fma_f64 v[186:187], v[38:39], s[0:1], -v[188:189]
	v_mul_f64 v[42:43], v[42:43], s[34:35]
	v_add_f64 v[56:57], v[186:187], v[56:57]
	v_fma_f64 v[186:187], v[36:37], s[20:21], -v[42:43]
	v_mul_f64 v[40:41], v[40:41], s[34:35]
	v_fmac_f64_e32 v[42:43], s[20:21], v[36:37]
	v_add_f64 v[8:9], v[42:43], v[8:9]
	v_fma_f64 v[36:37], v[38:39], s[20:21], -v[40:41]
	v_add_f64 v[42:43], v[178:179], -v[190:191]
	v_add_f64 v[50:51], v[196:197], v[50:51]
	v_fma_f64 v[196:197], s[0:1], v[38:39], v[188:189]
	v_add_f64 v[164:165], v[186:187], v[164:165]
	v_fma_f64 v[186:187], s[20:21], v[38:39], v[40:41]
	v_add_f64 v[10:11], v[36:37], v[10:11]
	v_add_f64 v[36:37], v[180:181], v[192:193]
	;; [unrolled: 1-line block ×3, first 2 shown]
	v_mul_f64 v[178:179], v[42:43], s[36:37]
	v_add_f64 v[0:1], v[0:1], v[180:181]
	v_add_f64 v[40:41], v[180:181], -v[192:193]
	v_fma_f64 v[180:181], v[36:37], s[0:1], -v[178:179]
	v_add_f64 v[12:13], v[180:181], v[12:13]
	v_mul_f64 v[180:181], v[40:41], s[36:37]
	v_fmac_f64_e32 v[178:179], s[0:1], v[36:37]
	v_add_f64 v[16:17], v[178:179], v[16:17]
	v_fma_f64 v[178:179], v[38:39], s[0:1], -v[180:181]
	v_add_f64 v[18:19], v[178:179], v[18:19]
	v_mul_f64 v[178:179], v[42:43], s[28:29]
	v_fma_f64 v[188:189], s[0:1], v[38:39], v[180:181]
	v_fma_f64 v[180:181], v[36:37], s[26:27], -v[178:179]
	v_add_f64 v[20:21], v[180:181], v[20:21]
	v_mul_f64 v[180:181], v[40:41], s[28:29]
	v_fmac_f64_e32 v[178:179], s[26:27], v[36:37]
	v_add_f64 v[24:25], v[178:179], v[24:25]
	v_fma_f64 v[178:179], v[38:39], s[26:27], -v[180:181]
	v_add_f64 v[26:27], v[178:179], v[26:27]
	v_mul_f64 v[178:179], v[42:43], s[46:47]
	v_add_f64 v[14:15], v[188:189], v[14:15]
	v_fma_f64 v[188:189], s[26:27], v[38:39], v[180:181]
	v_fma_f64 v[180:181], v[36:37], s[2:3], -v[178:179]
	v_add_f64 v[28:29], v[180:181], v[28:29]
	v_mul_f64 v[180:181], v[40:41], s[46:47]
	v_fmac_f64_e32 v[178:179], s[2:3], v[36:37]
	v_add_f64 v[32:33], v[178:179], v[32:33]
	v_fma_f64 v[178:179], v[38:39], s[2:3], -v[180:181]
	v_add_f64 v[34:35], v[178:179], v[34:35]
	v_mul_f64 v[178:179], v[42:43], s[34:35]
	v_add_f64 v[22:23], v[188:189], v[22:23]
	;; [unrolled: 10-line block ×3, first 2 shown]
	v_fma_f64 v[188:189], s[20:21], v[38:39], v[180:181]
	v_fma_f64 v[180:181], v[36:37], s[14:15], -v[178:179]
	v_add_f64 v[54:55], v[180:181], v[54:55]
	v_mul_f64 v[180:181], v[40:41], s[30:31]
	v_fmac_f64_e32 v[178:179], s[14:15], v[36:37]
	v_add_f64 v[52:53], v[178:179], v[52:53]
	v_fma_f64 v[178:179], v[38:39], s[14:15], -v[180:181]
	v_mul_f64 v[42:43], v[42:43], s[24:25]
	v_add_f64 v[56:57], v[178:179], v[56:57]
	v_fma_f64 v[178:179], v[36:37], s[22:23], -v[42:43]
	v_mul_f64 v[40:41], v[40:41], s[24:25]
	v_fmac_f64_e32 v[42:43], s[22:23], v[36:37]
	v_add_f64 v[8:9], v[42:43], v[8:9]
	v_fma_f64 v[36:37], v[38:39], s[22:23], -v[40:41]
	v_add_f64 v[42:43], v[170:171], -v[182:183]
	v_add_f64 v[50:51], v[188:189], v[50:51]
	v_fma_f64 v[188:189], s[14:15], v[38:39], v[180:181]
	v_add_f64 v[164:165], v[178:179], v[164:165]
	v_fma_f64 v[178:179], s[22:23], v[38:39], v[40:41]
	v_add_f64 v[10:11], v[36:37], v[10:11]
	v_add_f64 v[36:37], v[172:173], v[184:185]
	;; [unrolled: 1-line block ×3, first 2 shown]
	v_mul_f64 v[170:171], v[42:43], s[16:17]
	v_add_f64 v[0:1], v[0:1], v[172:173]
	v_add_f64 v[40:41], v[172:173], -v[184:185]
	v_fma_f64 v[172:173], v[36:37], s[2:3], -v[170:171]
	v_add_f64 v[12:13], v[172:173], v[12:13]
	v_mul_f64 v[172:173], v[40:41], s[16:17]
	v_fmac_f64_e32 v[170:171], s[2:3], v[36:37]
	v_add_f64 v[16:17], v[170:171], v[16:17]
	v_fma_f64 v[170:171], v[38:39], s[2:3], -v[172:173]
	v_add_f64 v[18:19], v[170:171], v[18:19]
	v_mul_f64 v[170:171], v[42:43], s[40:41]
	v_fma_f64 v[180:181], s[2:3], v[38:39], v[172:173]
	v_fma_f64 v[172:173], v[36:37], s[22:23], -v[170:171]
	v_add_f64 v[20:21], v[172:173], v[20:21]
	v_mul_f64 v[172:173], v[40:41], s[40:41]
	v_fmac_f64_e32 v[170:171], s[22:23], v[36:37]
	v_add_f64 v[24:25], v[170:171], v[24:25]
	v_fma_f64 v[170:171], v[38:39], s[22:23], -v[172:173]
	v_add_f64 v[26:27], v[170:171], v[26:27]
	v_mul_f64 v[170:171], v[42:43], s[34:35]
	v_add_f64 v[14:15], v[180:181], v[14:15]
	v_fma_f64 v[180:181], s[22:23], v[38:39], v[172:173]
	v_fma_f64 v[172:173], v[36:37], s[20:21], -v[170:171]
	v_add_f64 v[28:29], v[172:173], v[28:29]
	v_mul_f64 v[172:173], v[40:41], s[34:35]
	v_fmac_f64_e32 v[170:171], s[20:21], v[36:37]
	v_add_f64 v[32:33], v[170:171], v[32:33]
	v_fma_f64 v[170:171], v[38:39], s[20:21], -v[172:173]
	v_add_f64 v[34:35], v[170:171], v[34:35]
	v_mul_f64 v[170:171], v[42:43], s[36:37]
	v_add_f64 v[22:23], v[180:181], v[22:23]
	;; [unrolled: 10-line block ×3, first 2 shown]
	v_fma_f64 v[180:181], s[0:1], v[38:39], v[172:173]
	v_fma_f64 v[172:173], v[36:37], s[26:27], -v[170:171]
	v_add_f64 v[54:55], v[172:173], v[54:55]
	v_mul_f64 v[172:173], v[40:41], s[42:43]
	v_fmac_f64_e32 v[170:171], s[26:27], v[36:37]
	v_add_f64 v[52:53], v[170:171], v[52:53]
	v_fma_f64 v[170:171], v[38:39], s[26:27], -v[172:173]
	v_mul_f64 v[42:43], v[42:43], s[38:39]
	v_add_f64 v[186:187], v[186:187], v[194:195]
	v_add_f64 v[56:57], v[170:171], v[56:57]
	v_fma_f64 v[170:171], v[36:37], s[14:15], -v[42:43]
	v_mul_f64 v[40:41], v[40:41], s[38:39]
	v_add_f64 v[178:179], v[178:179], v[186:187]
	v_add_f64 v[164:165], v[170:171], v[164:165]
	v_fma_f64 v[170:171], s[14:15], v[38:39], v[40:41]
	v_add_f64 v[170:171], v[170:171], v[178:179]
	v_fmac_f64_e32 v[42:43], s[14:15], v[36:37]
	v_fma_f64 v[36:37], v[38:39], s[14:15], -v[40:41]
	v_add_f64 v[178:179], v[166:167], v[174:175]
	v_add_f64 v[166:167], v[166:167], -v[174:175]
	v_add_f64 v[50:51], v[180:181], v[50:51]
	v_fma_f64 v[180:181], s[26:27], v[38:39], v[172:173]
	v_add_f64 v[10:11], v[36:37], v[10:11]
	v_add_f64 v[172:173], v[168:169], v[176:177]
	v_mul_f64 v[36:37], v[166:167], s[24:25]
	v_add_f64 v[0:1], v[0:1], v[168:169]
	v_add_f64 v[168:169], v[168:169], -v[176:177]
	v_fma_f64 v[38:39], v[172:173], s[22:23], -v[36:37]
	v_add_f64 v[0:1], v[0:1], v[158:159]
	v_add_f64 v[174:175], v[38:39], v[12:13]
	v_mul_f64 v[38:39], v[168:169], s[24:25]
	v_add_f64 v[0:1], v[0:1], v[162:163]
	v_fma_f64 v[12:13], s[22:23], v[178:179], v[38:39]
	v_fmac_f64_e32 v[36:37], s[22:23], v[172:173]
	v_add_f64 v[0:1], v[0:1], v[176:177]
	v_add_f64 v[176:177], v[12:13], v[14:15]
	;; [unrolled: 1-line block ×3, first 2 shown]
	v_mul_f64 v[36:37], v[166:167], s[18:19]
	v_fma_f64 v[16:17], v[172:173], s[0:1], -v[36:37]
	v_fmac_f64_e32 v[36:37], s[0:1], v[172:173]
	v_add_f64 v[16:17], v[16:17], v[20:21]
	v_add_f64 v[20:21], v[36:37], v[24:25]
	v_mul_f64 v[36:37], v[166:167], s[30:31]
	v_fma_f64 v[14:15], v[178:179], s[22:23], -v[38:39]
	v_mul_f64 v[38:39], v[168:169], s[18:19]
	v_fma_f64 v[24:25], v[172:173], s[14:15], -v[36:37]
	v_fmac_f64_e32 v[36:37], s[14:15], v[172:173]
	v_add_f64 v[14:15], v[14:15], v[18:19]
	v_fma_f64 v[18:19], s[0:1], v[178:179], v[38:39]
	v_add_f64 v[24:25], v[24:25], v[28:29]
	v_add_f64 v[28:29], v[36:37], v[32:33]
	v_mul_f64 v[36:37], v[166:167], s[42:43]
	v_add_f64 v[18:19], v[18:19], v[22:23]
	v_fma_f64 v[22:23], v[178:179], s[0:1], -v[38:39]
	v_mul_f64 v[38:39], v[168:169], s[30:31]
	v_fma_f64 v[32:33], v[172:173], s[26:27], -v[36:37]
	v_fmac_f64_e32 v[36:37], s[26:27], v[172:173]
	v_add_f64 v[22:23], v[22:23], v[26:27]
	v_fma_f64 v[26:27], s[14:15], v[178:179], v[38:39]
	v_add_f64 v[36:37], v[36:37], v[44:45]
	v_mul_f64 v[44:45], v[166:167], s[34:35]
	v_add_f64 v[58:59], v[196:197], v[58:59]
	v_add_f64 v[26:27], v[26:27], v[30:31]
	v_fma_f64 v[30:31], v[178:179], s[14:15], -v[38:39]
	v_add_f64 v[32:33], v[32:33], v[46:47]
	v_mul_f64 v[38:39], v[168:169], s[42:43]
	v_fma_f64 v[40:41], v[172:173], s[20:21], -v[44:45]
	v_mul_f64 v[46:47], v[168:169], s[34:35]
	v_fmac_f64_e32 v[44:45], s[20:21], v[172:173]
	v_add_f64 v[58:59], v[188:189], v[58:59]
	v_add_f64 v[8:9], v[42:43], v[8:9]
	;; [unrolled: 1-line block ×3, first 2 shown]
	v_fma_f64 v[34:35], s[26:27], v[178:179], v[38:39]
	v_fma_f64 v[38:39], v[178:179], s[26:27], -v[38:39]
	v_fma_f64 v[42:43], s[20:21], v[178:179], v[46:47]
	v_add_f64 v[44:45], v[44:45], v[52:53]
	v_fma_f64 v[46:47], v[178:179], s[20:21], -v[46:47]
	v_mul_f64 v[52:53], v[166:167], s[16:17]
	v_add_f64 v[58:59], v[180:181], v[58:59]
	v_add_f64 v[38:39], v[38:39], v[48:49]
	;; [unrolled: 1-line block ×4, first 2 shown]
	v_fma_f64 v[48:49], v[172:173], s[2:3], -v[52:53]
	v_mul_f64 v[54:55], v[168:169], s[16:17]
	v_fmac_f64_e32 v[52:53], s[2:3], v[172:173]
	v_add_f64 v[56:57], v[156:157], v[160:161]
	v_add_f64 v[156:157], v[156:157], -v[160:161]
	v_add_f64 v[42:43], v[42:43], v[58:59]
	v_add_f64 v[52:53], v[52:53], v[8:9]
	v_fma_f64 v[8:9], v[178:179], s[2:3], -v[54:55]
	v_add_f64 v[58:59], v[158:159], v[162:163]
	v_add_f64 v[158:159], v[158:159], -v[162:163]
	v_mul_f64 v[160:161], v[156:157], s[28:29]
	v_add_f64 v[34:35], v[34:35], v[50:51]
	v_fma_f64 v[50:51], s[2:3], v[178:179], v[54:55]
	v_add_f64 v[54:55], v[8:9], v[10:11]
	v_fma_f64 v[8:9], v[58:59], s[26:27], -v[160:161]
	v_mul_f64 v[162:163], v[158:159], s[28:29]
	v_fmac_f64_e32 v[160:161], s[26:27], v[58:59]
	v_add_f64 v[12:13], v[160:161], v[12:13]
	v_fma_f64 v[160:161], v[56:57], s[26:27], -v[162:163]
	v_add_f64 v[14:15], v[160:161], v[14:15]
	v_mul_f64 v[160:161], v[156:157], s[34:35]
	v_fma_f64 v[10:11], s[26:27], v[56:57], v[162:163]
	v_fma_f64 v[162:163], v[58:59], s[20:21], -v[160:161]
	v_add_f64 v[16:17], v[162:163], v[16:17]
	v_mul_f64 v[162:163], v[158:159], s[34:35]
	v_fmac_f64_e32 v[160:161], s[20:21], v[58:59]
	v_add_f64 v[20:21], v[160:161], v[20:21]
	v_fma_f64 v[160:161], v[56:57], s[20:21], -v[162:163]
	v_add_f64 v[22:23], v[160:161], v[22:23]
	v_mul_f64 v[160:161], v[156:157], s[24:25]
	v_add_f64 v[48:49], v[48:49], v[164:165]
	v_fma_f64 v[164:165], s[20:21], v[56:57], v[162:163]
	v_fma_f64 v[162:163], v[58:59], s[22:23], -v[160:161]
	v_add_f64 v[24:25], v[162:163], v[24:25]
	v_mul_f64 v[162:163], v[158:159], s[24:25]
	v_fmac_f64_e32 v[160:161], s[22:23], v[58:59]
	v_add_f64 v[28:29], v[160:161], v[28:29]
	v_fma_f64 v[160:161], v[56:57], s[22:23], -v[162:163]
	v_add_f64 v[30:31], v[160:161], v[30:31]
	v_mul_f64 v[160:161], v[156:157], s[38:39]
	v_add_f64 v[18:19], v[164:165], v[18:19]
	;; [unrolled: 10-line block ×3, first 2 shown]
	v_fma_f64 v[164:165], s[14:15], v[56:57], v[162:163]
	v_fma_f64 v[162:163], v[58:59], s[2:3], -v[160:161]
	v_add_f64 v[40:41], v[162:163], v[40:41]
	v_mul_f64 v[162:163], v[158:159], s[16:17]
	v_fmac_f64_e32 v[160:161], s[2:3], v[58:59]
	v_add_f64 v[44:45], v[160:161], v[44:45]
	v_fma_f64 v[160:161], v[56:57], s[2:3], -v[162:163]
	v_mul_f64 v[156:157], v[156:157], s[18:19]
	v_add_f64 v[46:47], v[160:161], v[46:47]
	v_fma_f64 v[160:161], v[58:59], s[0:1], -v[156:157]
	v_mul_f64 v[158:159], v[158:159], s[18:19]
	v_add_f64 v[34:35], v[164:165], v[34:35]
	v_fma_f64 v[164:165], s[2:3], v[56:57], v[162:163]
	v_add_f64 v[48:49], v[160:161], v[48:49]
	v_fma_f64 v[160:161], s[0:1], v[56:57], v[158:159]
	v_fma_f64 v[56:57], v[56:57], s[0:1], -v[158:159]
	v_fmac_f64_e32 v[156:157], s[0:1], v[58:59]
	v_add_f64 v[54:55], v[56:57], v[54:55]
	v_add_f64 v[56:57], v[4:5], v[102:103]
	v_add_f64 v[58:59], v[6:7], v[100:101]
	v_add_f64 v[56:57], v[56:57], v[94:95]
	v_add_f64 v[58:59], v[58:59], v[92:93]
	v_add_f64 v[56:57], v[56:57], v[86:87]
	v_add_f64 v[58:59], v[58:59], v[84:85]
	v_add_f64 v[56:57], v[56:57], v[78:79]
	v_add_f64 v[58:59], v[58:59], v[76:77]
	v_add_f64 v[56:57], v[56:57], v[70:71]
	v_add_f64 v[58:59], v[58:59], v[68:69]
	v_add_f64 v[56:57], v[56:57], v[62:63]
	v_add_f64 v[58:59], v[58:59], v[60:61]
	v_add_f64 v[56:57], v[56:57], v[66:67]
	v_add_f64 v[58:59], v[58:59], v[64:65]
	v_add_f64 v[56:57], v[56:57], v[74:75]
	v_add_f64 v[58:59], v[58:59], v[72:73]
	v_add_f64 v[56:57], v[56:57], v[82:83]
	v_add_f64 v[58:59], v[58:59], v[80:81]
	v_add_f64 v[56:57], v[56:57], v[90:91]
	v_add_f64 v[58:59], v[58:59], v[88:89]
	v_add_f64 v[0:1], v[0:1], v[184:185]
	v_add_f64 v[50:51], v[50:51], v[170:171]
	v_add_f64 v[10:11], v[10:11], v[176:177]
	v_add_f64 v[56:57], v[56:57], v[98:99]
	v_add_f64 v[58:59], v[58:59], v[96:97]
	v_add_f64 v[176:177], v[102:103], -v[154:155]
	v_add_f64 v[178:179], v[100:101], -v[152:153]
	v_add_f64 v[0:1], v[0:1], v[192:193]
	v_add_f64 v[8:9], v[8:9], v[174:175]
	;; [unrolled: 1-line block ×7, first 2 shown]
	v_mul_f64 v[152:153], v[178:179], s[44:45]
	v_mul_f64 v[154:155], v[176:177], s[44:45]
	;; [unrolled: 1-line block ×12, first 2 shown]
	v_add_f64 v[0:1], v[0:1], v[198:199]
	v_add_f64 v[42:43], v[164:165], v[42:43]
	;; [unrolled: 1-line block ×3, first 2 shown]
	v_fma_f64 v[100:101], v[172:173], s[20:21], -v[152:153]
	v_fma_f64 v[102:103], s[20:21], v[174:175], v[154:155]
	v_fmac_f64_e32 v[152:153], s[20:21], v[172:173]
	v_fma_f64 v[154:155], v[174:175], s[20:21], -v[154:155]
	v_fma_f64 v[156:157], v[172:173], s[14:15], -v[160:161]
	v_fma_f64 v[158:159], s[14:15], v[174:175], v[162:163]
	v_fmac_f64_e32 v[160:161], s[14:15], v[172:173]
	v_fma_f64 v[162:163], v[174:175], s[14:15], -v[162:163]
	v_fma_f64 v[164:165], v[172:173], s[0:1], -v[168:169]
	v_fma_f64 v[166:167], s[0:1], v[174:175], v[170:171]
	v_fmac_f64_e32 v[168:169], s[0:1], v[172:173]
	v_fma_f64 v[170:171], v[174:175], s[0:1], -v[170:171]
	v_fma_f64 v[182:183], v[172:173], s[2:3], -v[180:181]
	v_fma_f64 v[186:187], s[2:3], v[174:175], v[184:185]
	v_fmac_f64_e32 v[180:181], s[2:3], v[172:173]
	v_fma_f64 v[184:185], v[174:175], s[2:3], -v[184:185]
	v_fma_f64 v[190:191], v[172:173], s[22:23], -v[188:189]
	v_fma_f64 v[194:195], s[22:23], v[174:175], v[192:193]
	v_fmac_f64_e32 v[188:189], s[22:23], v[172:173]
	v_fma_f64 v[192:193], v[174:175], s[22:23], -v[192:193]
	v_fma_f64 v[196:197], v[172:173], s[26:27], -v[178:179]
	v_fma_f64 v[198:199], s[26:27], v[174:175], v[176:177]
	v_fmac_f64_e32 v[178:179], s[26:27], v[172:173]
	v_fma_f64 v[172:173], v[174:175], s[26:27], -v[176:177]
	v_add_f64 v[174:175], v[92:93], v[96:97]
	v_add_f64 v[92:93], v[92:93], -v[96:97]
	v_add_f64 v[102:103], v[6:7], v[102:103]
	v_add_f64 v[154:155], v[6:7], v[154:155]
	v_add_f64 v[158:159], v[6:7], v[158:159]
	v_add_f64 v[162:163], v[6:7], v[162:163]
	v_add_f64 v[166:167], v[6:7], v[166:167]
	v_add_f64 v[170:171], v[6:7], v[170:171]
	v_add_f64 v[186:187], v[6:7], v[186:187]
	v_add_f64 v[184:185], v[6:7], v[184:185]
	v_add_f64 v[194:195], v[6:7], v[194:195]
	v_add_f64 v[192:193], v[6:7], v[192:193]
	v_add_f64 v[198:199], v[6:7], v[198:199]
	v_add_f64 v[6:7], v[6:7], v[172:173]
	v_add_f64 v[172:173], v[94:95], v[98:99]
	v_mul_f64 v[96:97], v[92:93], s[30:31]
	v_add_f64 v[100:101], v[4:5], v[100:101]
	v_add_f64 v[94:95], v[94:95], -v[98:99]
	v_fma_f64 v[98:99], v[172:173], s[14:15], -v[96:97]
	v_add_f64 v[152:153], v[4:5], v[152:153]
	v_add_f64 v[98:99], v[98:99], v[100:101]
	v_mul_f64 v[100:101], v[94:95], s[30:31]
	v_fmac_f64_e32 v[96:97], s[14:15], v[172:173]
	v_fma_f64 v[176:177], s[14:15], v[174:175], v[100:101]
	v_add_f64 v[96:97], v[96:97], v[152:153]
	v_fma_f64 v[100:101], v[174:175], s[14:15], -v[100:101]
	v_mul_f64 v[152:153], v[92:93], s[16:17]
	v_add_f64 v[156:157], v[4:5], v[156:157]
	v_add_f64 v[100:101], v[100:101], v[154:155]
	v_fma_f64 v[154:155], v[172:173], s[2:3], -v[152:153]
	v_add_f64 v[160:161], v[4:5], v[160:161]
	v_add_f64 v[154:155], v[154:155], v[156:157]
	v_mul_f64 v[156:157], v[94:95], s[16:17]
	v_fmac_f64_e32 v[152:153], s[2:3], v[172:173]
	v_add_f64 v[102:103], v[176:177], v[102:103]
	v_fma_f64 v[176:177], s[2:3], v[174:175], v[156:157]
	v_add_f64 v[152:153], v[152:153], v[160:161]
	v_fma_f64 v[156:157], v[174:175], s[2:3], -v[156:157]
	v_mul_f64 v[160:161], v[92:93], s[28:29]
	v_add_f64 v[164:165], v[4:5], v[164:165]
	v_add_f64 v[156:157], v[156:157], v[162:163]
	v_fma_f64 v[162:163], v[172:173], s[26:27], -v[160:161]
	v_add_f64 v[168:169], v[4:5], v[168:169]
	v_add_f64 v[162:163], v[162:163], v[164:165]
	v_mul_f64 v[164:165], v[94:95], s[28:29]
	v_fmac_f64_e32 v[160:161], s[26:27], v[172:173]
	v_add_f64 v[158:159], v[176:177], v[158:159]
	v_fma_f64 v[176:177], s[26:27], v[174:175], v[164:165]
	v_add_f64 v[160:161], v[160:161], v[168:169]
	v_fma_f64 v[164:165], v[174:175], s[26:27], -v[164:165]
	v_mul_f64 v[168:169], v[92:93], s[40:41]
	v_add_f64 v[180:181], v[4:5], v[180:181]
	v_add_f64 v[164:165], v[164:165], v[170:171]
	v_fma_f64 v[170:171], v[172:173], s[22:23], -v[168:169]
	v_fmac_f64_e32 v[168:169], s[22:23], v[172:173]
	v_add_f64 v[182:183], v[4:5], v[182:183]
	v_add_f64 v[166:167], v[176:177], v[166:167]
	v_mul_f64 v[176:177], v[94:95], s[40:41]
	v_add_f64 v[168:169], v[168:169], v[180:181]
	v_mul_f64 v[180:181], v[92:93], s[18:19]
	v_add_f64 v[190:191], v[4:5], v[190:191]
	v_add_f64 v[188:189], v[4:5], v[188:189]
	;; [unrolled: 1-line block ×5, first 2 shown]
	v_fma_f64 v[178:179], s[22:23], v[174:175], v[176:177]
	v_fma_f64 v[176:177], v[174:175], s[22:23], -v[176:177]
	v_fma_f64 v[182:183], v[172:173], s[0:1], -v[180:181]
	v_fmac_f64_e32 v[180:181], s[0:1], v[172:173]
	v_mul_f64 v[92:93], v[92:93], s[34:35]
	v_add_f64 v[176:177], v[176:177], v[184:185]
	v_mul_f64 v[184:185], v[94:95], s[18:19]
	v_add_f64 v[180:181], v[180:181], v[188:189]
	v_fma_f64 v[188:189], v[172:173], s[20:21], -v[92:93]
	v_mul_f64 v[94:95], v[94:95], s[34:35]
	v_fmac_f64_e32 v[92:93], s[20:21], v[172:173]
	v_add_f64 v[182:183], v[182:183], v[190:191]
	v_fma_f64 v[190:191], s[20:21], v[174:175], v[94:95]
	v_add_f64 v[4:5], v[92:93], v[4:5]
	v_fma_f64 v[92:93], v[174:175], s[20:21], -v[94:95]
	v_add_f64 v[94:95], v[84:85], v[88:89]
	v_add_f64 v[84:85], v[84:85], -v[88:89]
	v_add_f64 v[6:7], v[92:93], v[6:7]
	v_add_f64 v[92:93], v[86:87], v[90:91]
	v_mul_f64 v[88:89], v[84:85], s[36:37]
	v_add_f64 v[86:87], v[86:87], -v[90:91]
	v_fma_f64 v[90:91], v[92:93], s[0:1], -v[88:89]
	v_add_f64 v[90:91], v[90:91], v[98:99]
	v_mul_f64 v[98:99], v[86:87], s[36:37]
	v_fmac_f64_e32 v[88:89], s[0:1], v[92:93]
	v_fma_f64 v[172:173], s[0:1], v[94:95], v[98:99]
	v_add_f64 v[88:89], v[88:89], v[96:97]
	v_fma_f64 v[96:97], v[94:95], s[0:1], -v[98:99]
	v_mul_f64 v[98:99], v[84:85], s[28:29]
	v_add_f64 v[96:97], v[96:97], v[100:101]
	v_fma_f64 v[100:101], v[92:93], s[26:27], -v[98:99]
	v_add_f64 v[100:101], v[100:101], v[154:155]
	v_mul_f64 v[154:155], v[86:87], s[28:29]
	v_fmac_f64_e32 v[98:99], s[26:27], v[92:93]
	v_add_f64 v[102:103], v[172:173], v[102:103]
	v_fma_f64 v[172:173], s[26:27], v[94:95], v[154:155]
	v_add_f64 v[98:99], v[98:99], v[152:153]
	v_fma_f64 v[152:153], v[94:95], s[26:27], -v[154:155]
	v_mul_f64 v[154:155], v[84:85], s[46:47]
	v_add_f64 v[152:153], v[152:153], v[156:157]
	v_fma_f64 v[156:157], v[92:93], s[2:3], -v[154:155]
	v_add_f64 v[156:157], v[156:157], v[162:163]
	v_mul_f64 v[162:163], v[86:87], s[46:47]
	v_fmac_f64_e32 v[154:155], s[2:3], v[92:93]
	v_add_f64 v[158:159], v[172:173], v[158:159]
	;; [unrolled: 10-line block ×3, first 2 shown]
	v_fma_f64 v[172:173], s[20:21], v[94:95], v[170:171]
	v_add_f64 v[162:163], v[162:163], v[168:169]
	v_fma_f64 v[168:169], v[94:95], s[20:21], -v[170:171]
	v_mul_f64 v[170:171], v[84:85], s[30:31]
	v_add_f64 v[178:179], v[178:179], v[186:187]
	v_fma_f64 v[186:187], s[0:1], v[174:175], v[184:185]
	v_fma_f64 v[184:185], v[174:175], s[0:1], -v[184:185]
	v_fma_f64 v[174:175], v[92:93], s[14:15], -v[170:171]
	v_fmac_f64_e32 v[170:171], s[14:15], v[92:93]
	v_mul_f64 v[84:85], v[84:85], s[24:25]
	v_add_f64 v[168:169], v[168:169], v[176:177]
	v_mul_f64 v[176:177], v[86:87], s[30:31]
	v_add_f64 v[170:171], v[170:171], v[180:181]
	v_fma_f64 v[180:181], v[92:93], s[22:23], -v[84:85]
	v_mul_f64 v[86:87], v[86:87], s[24:25]
	v_fmac_f64_e32 v[84:85], s[22:23], v[92:93]
	v_add_f64 v[174:175], v[174:175], v[182:183]
	v_fma_f64 v[182:183], s[22:23], v[94:95], v[86:87]
	v_add_f64 v[4:5], v[84:85], v[4:5]
	v_fma_f64 v[84:85], v[94:95], s[22:23], -v[86:87]
	v_add_f64 v[86:87], v[76:77], v[80:81]
	v_add_f64 v[76:77], v[76:77], -v[80:81]
	v_add_f64 v[6:7], v[84:85], v[6:7]
	v_add_f64 v[84:85], v[78:79], v[82:83]
	v_mul_f64 v[80:81], v[76:77], s[16:17]
	v_add_f64 v[78:79], v[78:79], -v[82:83]
	v_fma_f64 v[82:83], v[84:85], s[2:3], -v[80:81]
	v_add_f64 v[82:83], v[82:83], v[90:91]
	v_mul_f64 v[90:91], v[78:79], s[16:17]
	v_fmac_f64_e32 v[80:81], s[2:3], v[84:85]
	v_fma_f64 v[92:93], s[2:3], v[86:87], v[90:91]
	v_add_f64 v[80:81], v[80:81], v[88:89]
	v_fma_f64 v[88:89], v[86:87], s[2:3], -v[90:91]
	v_mul_f64 v[90:91], v[76:77], s[40:41]
	v_add_f64 v[172:173], v[172:173], v[178:179]
	v_fma_f64 v[178:179], s[14:15], v[94:95], v[176:177]
	v_fma_f64 v[176:177], v[94:95], s[14:15], -v[176:177]
	v_add_f64 v[88:89], v[88:89], v[96:97]
	v_fma_f64 v[94:95], v[84:85], s[22:23], -v[90:91]
	v_mul_f64 v[96:97], v[78:79], s[40:41]
	v_fmac_f64_e32 v[90:91], s[22:23], v[84:85]
	v_add_f64 v[94:95], v[94:95], v[100:101]
	v_fma_f64 v[100:101], s[22:23], v[86:87], v[96:97]
	v_add_f64 v[90:91], v[90:91], v[98:99]
	v_fma_f64 v[96:97], v[86:87], s[22:23], -v[96:97]
	v_mul_f64 v[98:99], v[76:77], s[34:35]
	v_add_f64 v[92:93], v[92:93], v[102:103]
	v_add_f64 v[96:97], v[96:97], v[152:153]
	v_fma_f64 v[102:103], v[84:85], s[20:21], -v[98:99]
	v_mul_f64 v[152:153], v[78:79], s[34:35]
	v_fmac_f64_e32 v[98:99], s[20:21], v[84:85]
	v_add_f64 v[190:191], v[190:191], v[198:199]
	v_add_f64 v[102:103], v[102:103], v[156:157]
	v_fma_f64 v[156:157], s[20:21], v[86:87], v[152:153]
	v_add_f64 v[98:99], v[98:99], v[154:155]
	v_fma_f64 v[152:153], v[86:87], s[20:21], -v[152:153]
	v_mul_f64 v[154:155], v[76:77], s[36:37]
	v_add_f64 v[186:187], v[186:187], v[194:195]
	v_add_f64 v[184:185], v[184:185], v[192:193]
	;; [unrolled: 1-line block ×5, first 2 shown]
	v_fma_f64 v[158:159], v[84:85], s[0:1], -v[154:155]
	v_mul_f64 v[160:161], v[78:79], s[36:37]
	v_add_f64 v[190:191], v[68:69], -v[72:73]
	v_add_f64 v[188:189], v[188:189], v[196:197]
	v_add_f64 v[178:179], v[178:179], v[186:187]
	;; [unrolled: 1-line block ×4, first 2 shown]
	v_fma_f64 v[164:165], s[0:1], v[86:87], v[160:161]
	v_fma_f64 v[160:161], v[86:87], s[0:1], -v[160:161]
	v_add_f64 v[184:185], v[70:71], v[74:75]
	v_add_f64 v[186:187], v[68:69], v[72:73]
	v_mul_f64 v[68:69], v[190:191], s[24:25]
	v_add_f64 v[180:181], v[180:181], v[188:189]
	v_fmac_f64_e32 v[154:155], s[0:1], v[84:85]
	v_add_f64 v[168:169], v[160:161], v[168:169]
	v_mul_f64 v[160:161], v[76:77], s[42:43]
	v_add_f64 v[188:189], v[70:71], -v[74:75]
	v_fma_f64 v[70:71], v[184:185], s[22:23], -v[68:69]
	v_add_f64 v[154:155], v[154:155], v[162:163]
	v_fma_f64 v[162:163], v[84:85], s[26:27], -v[160:161]
	v_add_f64 v[192:193], v[70:71], v[82:83]
	v_mul_f64 v[70:71], v[188:189], s[24:25]
	v_fmac_f64_e32 v[68:69], s[22:23], v[184:185]
	v_add_f64 v[174:175], v[162:163], v[174:175]
	v_mul_f64 v[162:163], v[78:79], s[42:43]
	v_fmac_f64_e32 v[160:161], s[26:27], v[84:85]
	v_add_f64 v[80:81], v[68:69], v[80:81]
	v_fma_f64 v[68:69], v[186:187], s[22:23], -v[70:71]
	v_add_f64 v[170:171], v[160:161], v[170:171]
	v_fma_f64 v[160:161], v[86:87], s[26:27], -v[162:163]
	v_mul_f64 v[76:77], v[76:77], s[38:39]
	v_add_f64 v[82:83], v[68:69], v[88:89]
	v_mul_f64 v[68:69], v[190:191], s[18:19]
	v_add_f64 v[176:177], v[160:161], v[176:177]
	v_fma_f64 v[160:161], v[84:85], s[14:15], -v[76:77]
	v_mul_f64 v[78:79], v[78:79], s[38:39]
	v_fmac_f64_e32 v[76:77], s[14:15], v[84:85]
	v_fma_f64 v[72:73], s[22:23], v[186:187], v[70:71]
	v_fma_f64 v[70:71], v[184:185], s[0:1], -v[68:69]
	v_add_f64 v[156:157], v[156:157], v[166:167]
	v_add_f64 v[4:5], v[76:77], v[4:5]
	v_fma_f64 v[76:77], v[86:87], s[14:15], -v[78:79]
	v_add_f64 v[166:167], v[70:71], v[94:95]
	v_mul_f64 v[70:71], v[188:189], s[18:19]
	v_fmac_f64_e32 v[68:69], s[0:1], v[184:185]
	v_add_f64 v[6:7], v[76:77], v[6:7]
	v_add_f64 v[76:77], v[68:69], v[90:91]
	v_fma_f64 v[68:69], v[186:187], s[0:1], -v[70:71]
	v_add_f64 v[180:181], v[160:161], v[180:181]
	v_fma_f64 v[160:161], s[14:15], v[86:87], v[78:79]
	v_add_f64 v[78:79], v[68:69], v[96:97]
	v_mul_f64 v[68:69], v[190:191], s[30:31]
	v_add_f64 v[194:195], v[72:73], v[92:93]
	v_fma_f64 v[72:73], s[0:1], v[186:187], v[70:71]
	v_fma_f64 v[70:71], v[184:185], s[14:15], -v[68:69]
	v_add_f64 v[172:173], v[164:165], v[172:173]
	v_fma_f64 v[164:165], s[26:27], v[86:87], v[162:163]
	v_add_f64 v[162:163], v[70:71], v[102:103]
	v_mul_f64 v[70:71], v[188:189], s[30:31]
	v_add_f64 v[178:179], v[164:165], v[178:179]
	v_add_f64 v[164:165], v[72:73], v[100:101]
	v_fma_f64 v[72:73], s[14:15], v[186:187], v[70:71]
	v_fmac_f64_e32 v[68:69], s[14:15], v[184:185]
	v_fma_f64 v[70:71], v[186:187], s[14:15], -v[70:71]
	v_mul_f64 v[84:85], v[190:191], s[42:43]
	v_mul_f64 v[96:97], v[190:191], s[16:17]
	v_add_f64 v[182:183], v[160:161], v[182:183]
	v_add_f64 v[160:161], v[72:73], v[156:157]
	;; [unrolled: 1-line block ×4, first 2 shown]
	v_fma_f64 v[72:73], v[184:185], s[26:27], -v[84:85]
	v_fma_f64 v[98:99], v[184:185], s[2:3], -v[96:97]
	v_mul_f64 v[152:153], v[188:189], s[16:17]
	v_add_f64 v[72:73], v[72:73], v[158:159]
	v_fmac_f64_e32 v[84:85], s[26:27], v[184:185]
	v_add_f64 v[102:103], v[98:99], v[180:181]
	v_fma_f64 v[98:99], s[2:3], v[186:187], v[152:153]
	v_fmac_f64_e32 v[96:97], s[2:3], v[184:185]
	v_add_f64 v[158:159], v[60:61], -v[64:65]
	v_add_f64 v[84:85], v[84:85], v[154:155]
	v_add_f64 v[100:101], v[98:99], v[182:183]
	;; [unrolled: 1-line block ×3, first 2 shown]
	v_fma_f64 v[4:5], v[186:187], s[2:3], -v[152:153]
	v_add_f64 v[154:155], v[62:63], v[66:67]
	v_add_f64 v[152:153], v[60:61], v[64:65]
	v_add_f64 v[156:157], v[62:63], -v[66:67]
	v_mul_f64 v[60:61], v[158:159], s[28:29]
	v_add_f64 v[96:97], v[4:5], v[6:7]
	v_fma_f64 v[4:5], v[154:155], s[26:27], -v[60:61]
	v_mul_f64 v[62:63], v[156:157], s[28:29]
	v_fmac_f64_e32 v[60:61], s[26:27], v[154:155]
	v_add_f64 v[80:81], v[60:61], v[80:81]
	v_fma_f64 v[60:61], v[152:153], s[26:27], -v[62:63]
	v_mul_f64 v[64:65], v[158:159], s[34:35]
	v_mul_f64 v[66:67], v[156:157], s[34:35]
	v_fma_f64 v[6:7], s[26:27], v[152:153], v[62:63]
	v_add_f64 v[82:83], v[60:61], v[82:83]
	v_fma_f64 v[60:61], v[154:155], s[20:21], -v[64:65]
	v_fma_f64 v[62:63], s[20:21], v[152:153], v[66:67]
	v_fmac_f64_e32 v[64:65], s[20:21], v[154:155]
	v_add_f64 v[62:63], v[62:63], v[164:165]
	v_add_f64 v[76:77], v[64:65], v[76:77]
	v_fma_f64 v[64:65], v[152:153], s[20:21], -v[66:67]
	v_mul_f64 v[164:165], v[158:159], s[24:25]
	v_add_f64 v[78:79], v[64:65], v[78:79]
	v_fma_f64 v[64:65], v[154:155], s[22:23], -v[164:165]
	v_add_f64 v[64:65], v[64:65], v[162:163]
	v_mul_f64 v[162:163], v[156:157], s[24:25]
	v_fma_f64 v[66:67], s[22:23], v[152:153], v[162:163]
	v_add_f64 v[66:67], v[66:67], v[160:161]
	v_fma_f64 v[160:161], v[152:153], s[22:23], -v[162:163]
	v_add_f64 v[70:71], v[160:161], v[70:71]
	v_mul_f64 v[160:161], v[158:159], s[38:39]
	v_mul_f64 v[86:87], v[188:189], s[42:43]
	v_fma_f64 v[162:163], v[154:155], s[14:15], -v[160:161]
	v_fma_f64 v[74:75], s[26:27], v[186:187], v[86:87]
	v_fma_f64 v[86:87], v[186:187], s[26:27], -v[86:87]
	v_add_f64 v[72:73], v[162:163], v[72:73]
	v_mul_f64 v[162:163], v[156:157], s[38:39]
	v_fmac_f64_e32 v[160:161], s[14:15], v[154:155]
	v_add_f64 v[86:87], v[86:87], v[168:169]
	v_mul_f64 v[92:93], v[190:191], s[34:35]
	v_add_f64 v[84:85], v[160:161], v[84:85]
	v_fma_f64 v[160:161], v[152:153], s[14:15], -v[162:163]
	v_fma_f64 v[88:89], v[184:185], s[20:21], -v[92:93]
	v_fmac_f64_e32 v[164:165], s[22:23], v[154:155]
	v_add_f64 v[86:87], v[160:161], v[86:87]
	v_mul_f64 v[160:161], v[158:159], s[16:17]
	v_add_f64 v[88:89], v[88:89], v[174:175]
	v_fmac_f64_e32 v[92:93], s[20:21], v[184:185]
	v_add_f64 v[68:69], v[164:165], v[68:69]
	v_fma_f64 v[164:165], s[14:15], v[152:153], v[162:163]
	v_fma_f64 v[162:163], v[154:155], s[2:3], -v[160:161]
	v_add_f64 v[74:75], v[74:75], v[172:173]
	v_add_f64 v[92:93], v[92:93], v[170:171]
	;; [unrolled: 1-line block ×3, first 2 shown]
	v_mul_f64 v[162:163], v[156:157], s[16:17]
	v_fmac_f64_e32 v[160:161], s[2:3], v[154:155]
	v_add_f64 v[74:75], v[164:165], v[74:75]
	v_fma_f64 v[164:165], s[2:3], v[152:153], v[162:163]
	v_add_f64 v[92:93], v[160:161], v[92:93]
	v_fma_f64 v[160:161], v[152:153], s[2:3], -v[162:163]
	v_mul_f64 v[162:163], v[158:159], s[18:19]
	v_mul_f64 v[94:95], v[188:189], s[34:35]
	v_fma_f64 v[158:159], v[154:155], s[0:1], -v[162:163]
	v_fma_f64 v[90:91], s[20:21], v[186:187], v[94:95]
	v_fma_f64 v[94:95], v[186:187], s[20:21], -v[94:95]
	v_add_f64 v[158:159], v[158:159], v[102:103]
	v_mul_f64 v[102:103], v[156:157], s[18:19]
	v_add_f64 v[94:95], v[94:95], v[176:177]
	v_fma_f64 v[156:157], s[0:1], v[152:153], v[102:103]
	v_add_f64 v[94:95], v[160:161], v[94:95]
	v_add_f64 v[160:161], v[156:157], v[100:101]
	v_fma_f64 v[100:101], v[152:153], s[0:1], -v[102:103]
	v_fmac_f64_e32 v[162:163], s[0:1], v[154:155]
	v_add_f64 v[100:101], v[100:101], v[96:97]
	v_cmp_lt_u16_e64 s[0:1], 25, v206
	v_mov_b32_e32 v96, 0x152
	v_add_f64 v[0:1], v[0:1], v[200:201]
	v_cndmask_b32_e64 v96, 0, v96, s[0:1]
	v_add_lshl_u32 v207, v207, v96, 4
	v_add_f64 v[90:91], v[90:91], v[178:179]
	ds_write_b128 v207, v[0:3]
	ds_write_b128 v207, v[8:11] offset:416
	ds_write_b128 v207, v[16:19] offset:832
	;; [unrolled: 1-line block ×12, first 2 shown]
	v_mul_u32_u24_e32 v0, 0x152, v208
	v_add_f64 v[4:5], v[4:5], v[192:193]
	v_add_f64 v[6:7], v[6:7], v[194:195]
	;; [unrolled: 1-line block ×5, first 2 shown]
	v_add_lshl_u32 v241, v0, v209, 4
	ds_write_b128 v241, v[56:59]
	ds_write_b128 v241, v[4:7] offset:416
	ds_write_b128 v241, v[60:63] offset:832
	;; [unrolled: 1-line block ×12, first 2 shown]
	s_waitcnt lgkmcnt(0)
	; wave barrier
	s_waitcnt lgkmcnt(0)
	ds_read_b128 v[152:155], v204
	ds_read_b128 v[12:15], v204 offset:5408
	ds_read_b128 v[8:11], v204 offset:10816
	;; [unrolled: 1-line block ×23, first 2 shown]
	s_and_saveexec_b64 s[2:3], s[0:1]
	s_xor_b64 s[0:1], exec, s[2:3]
; %bb.2:
                                        ; implicit-def: $vgpr202
; %bb.3:
	s_or_saveexec_b64 s[0:1], s[0:1]
                                        ; implicit-def: $vgpr160_vgpr161
                                        ; implicit-def: $vgpr156_vgpr157
	s_xor_b64 exec, exec, s[0:1]
	s_cbranch_execz .LBB0_5
; %bb.4:
	ds_read_b128 v[76:79], v204 offset:4992
	ds_read_b128 v[80:83], v204 offset:10400
	;; [unrolled: 1-line block ×4, first 2 shown]
	v_mov_b32_e32 v242, v202
.LBB0_5:
	s_or_b64 exec, exec, s[0:1]
	v_add_u32_e32 v0, 0x1a00, v203
	v_accvgpr_write_b32 a233, v0
	v_add_u32_e32 v0, 0x2080, v203
	v_accvgpr_write_b32 a232, v0
	;; [unrolled: 2-line block ×6, first 2 shown]
	v_add_u32_e32 v0, 0x4780, v203
	v_mad_u64_u32 v[228:229], s[0:1], v206, 48, s[10:11]
	s_movk_i32 s14, 0x1000
	v_accvgpr_write_b32 a227, v0
	v_add_u32_e32 v0, 0x4e00, v203
	s_mov_b64 s[2:3], 0x1500
	v_add_co_u32_e64 v164, s[0:1], s14, v228
	v_accvgpr_write_b32 a226, v0
	v_lshl_add_u64 v[0:1], v[228:229], 0, s[2:3]
	v_addc_co_u32_e64 v165, s[0:1], 0, v229, s[0:1]
	global_load_dwordx4 v[252:255], v[164:165], off offset:1280
	global_load_dwordx4 v[248:251], v[0:1], off offset:32
	s_nop 0
	global_load_dwordx4 v[0:3], v[0:1], off offset:16
	s_mov_b64 s[0:1], 0x1ec0
	s_movk_i32 s16, 0x2000
	s_movk_i32 s17, 0x3000
	v_add_u32_e32 v247, 0xd00, v203
	v_add_u32_e32 v246, 0x1380, v203
	s_movk_i32 s15, 0x4000
	s_waitcnt vmcnt(2) lgkmcnt(14)
	v_mul_f64 v[166:167], v[14:15], v[254:255]
	v_fma_f64 v[166:167], v[12:13], v[252:253], -v[166:167]
	v_mul_f64 v[168:169], v[12:13], v[254:255]
	s_waitcnt vmcnt(0)
	v_mul_f64 v[12:13], v[10:11], v[2:3]
	v_fma_f64 v[170:171], v[8:9], v[0:1], -v[12:13]
	v_mul_f64 v[172:173], v[8:9], v[2:3]
	v_mul_f64 v[8:9], v[6:7], v[250:251]
	;; [unrolled: 1-line block ×3, first 2 shown]
	v_lshl_add_u64 v[12:13], v[228:229], 0, s[0:1]
	v_fmac_f64_e32 v[168:169], v[14:15], v[252:253]
	v_fmac_f64_e32 v[172:173], v[10:11], v[0:1]
	v_fma_f64 v[174:175], v[4:5], v[248:249], -v[8:9]
	v_fmac_f64_e32 v[176:177], v[6:7], v[248:249]
	global_load_dwordx4 v[8:11], v[164:165], off offset:3776
	global_load_dwordx4 v[4:7], v[12:13], off offset:32
	s_nop 0
	global_load_dwordx4 v[12:15], v[12:13], off offset:16
	s_mov_b64 s[0:1], 0x2880
	s_waitcnt vmcnt(2)
	v_mul_f64 v[164:165], v[26:27], v[10:11]
	v_fma_f64 v[178:179], v[24:25], v[8:9], -v[164:165]
	v_mul_f64 v[180:181], v[24:25], v[10:11]
	s_waitcnt vmcnt(0)
	v_mul_f64 v[24:25], v[22:23], v[14:15]
	v_fma_f64 v[182:183], v[20:21], v[12:13], -v[24:25]
	v_mul_f64 v[184:185], v[20:21], v[14:15]
	v_mul_f64 v[20:21], v[18:19], v[6:7]
	v_fma_f64 v[186:187], v[16:17], v[4:5], -v[20:21]
	v_mul_f64 v[188:189], v[16:17], v[6:7]
	v_lshl_add_u64 v[24:25], v[228:229], 0, s[0:1]
	v_add_co_u32_e64 v16, s[0:1], s16, v228
	v_fmac_f64_e32 v[180:181], v[26:27], v[8:9]
	s_nop 0
	v_addc_co_u32_e64 v17, s[0:1], 0, v229, s[0:1]
	v_fmac_f64_e32 v[184:185], v[22:23], v[12:13]
	v_fmac_f64_e32 v[188:189], v[18:19], v[4:5]
	global_load_dwordx4 v[20:23], v[16:17], off offset:2176
	s_nop 0
	global_load_dwordx4 v[16:19], v[24:25], off offset:32
	s_nop 0
	global_load_dwordx4 v[24:27], v[24:25], off offset:16
	s_mov_b64 s[0:1], 0x3240
	s_waitcnt vmcnt(2)
	v_mul_f64 v[164:165], v[50:51], v[22:23]
	v_fma_f64 v[190:191], v[48:49], v[20:21], -v[164:165]
	v_mul_f64 v[192:193], v[48:49], v[22:23]
	s_waitcnt vmcnt(0) lgkmcnt(13)
	v_mul_f64 v[48:49], v[46:47], v[26:27]
	v_fma_f64 v[194:195], v[44:45], v[24:25], -v[48:49]
	v_lshl_add_u64 v[48:49], v[228:229], 0, s[0:1]
	v_add_co_u32_e64 v216, s[0:1], s17, v228
	v_mul_f64 v[196:197], v[44:45], v[26:27]
	s_waitcnt lgkmcnt(12)
	v_mul_f64 v[44:45], v[42:43], v[18:19]
	v_mul_f64 v[200:201], v[40:41], v[18:19]
	v_addc_co_u32_e64 v217, s[0:1], 0, v229, s[0:1]
	v_fmac_f64_e32 v[192:193], v[50:51], v[20:21]
	v_fmac_f64_e32 v[196:197], v[46:47], v[24:25]
	v_fma_f64 v[198:199], v[40:41], v[16:17], -v[44:45]
	v_fmac_f64_e32 v[200:201], v[42:43], v[16:17]
	global_load_dwordx4 v[44:47], v[216:217], off offset:576
	global_load_dwordx4 v[40:43], v[48:49], off offset:32
	s_nop 0
	global_load_dwordx4 v[48:51], v[48:49], off offset:16
	s_mov_b64 s[0:1], 0x3c00
	s_waitcnt vmcnt(2) lgkmcnt(10)
	v_mul_f64 v[164:165], v[62:63], v[46:47]
	v_fma_f64 v[202:203], v[60:61], v[44:45], -v[164:165]
	v_mul_f64 v[164:165], v[60:61], v[46:47]
	s_waitcnt vmcnt(0) lgkmcnt(9)
	v_mul_f64 v[60:61], v[58:59], v[50:51]
	v_fma_f64 v[208:209], v[56:57], v[48:49], -v[60:61]
	v_mul_f64 v[210:211], v[56:57], v[50:51]
	s_waitcnt lgkmcnt(8)
	v_mul_f64 v[56:57], v[54:55], v[42:43]
	v_mul_f64 v[214:215], v[52:53], v[42:43]
	v_lshl_add_u64 v[60:61], v[228:229], 0, s[0:1]
	v_fmac_f64_e32 v[164:165], v[62:63], v[44:45]
	v_fmac_f64_e32 v[210:211], v[58:59], v[48:49]
	v_fma_f64 v[212:213], v[52:53], v[40:41], -v[56:57]
	v_fmac_f64_e32 v[214:215], v[54:55], v[40:41]
	global_load_dwordx4 v[56:59], v[216:217], off offset:3072
	global_load_dwordx4 v[52:55], v[60:61], off offset:32
	s_nop 0
	global_load_dwordx4 v[60:63], v[60:61], off offset:16
	s_mov_b64 s[0:1], 0x45c0
	s_waitcnt vmcnt(2) lgkmcnt(6)
	v_mul_f64 v[216:217], v[74:75], v[58:59]
	v_fma_f64 v[216:217], v[72:73], v[56:57], -v[216:217]
	v_mul_f64 v[218:219], v[72:73], v[58:59]
	s_waitcnt vmcnt(0) lgkmcnt(5)
	v_mul_f64 v[72:73], v[70:71], v[62:63]
	v_fma_f64 v[220:221], v[68:69], v[60:61], -v[72:73]
	v_mul_f64 v[222:223], v[68:69], v[62:63]
	s_waitcnt lgkmcnt(4)
	v_mul_f64 v[68:69], v[66:67], v[54:55]
	v_fma_f64 v[224:225], v[64:65], v[52:53], -v[68:69]
	v_mul_f64 v[226:227], v[64:65], v[54:55]
	v_lshl_add_u64 v[68:69], v[228:229], 0, s[0:1]
	v_add_co_u32_e64 v64, s[0:1], s15, v228
	v_fmac_f64_e32 v[218:219], v[74:75], v[56:57]
	s_nop 0
	v_addc_co_u32_e64 v65, s[0:1], 0, v229, s[0:1]
	v_fmac_f64_e32 v[222:223], v[70:71], v[60:61]
	v_fmac_f64_e32 v[226:227], v[66:67], v[52:53]
	global_load_dwordx4 v[72:75], v[64:65], off offset:1472
	s_nop 0
	global_load_dwordx4 v[64:67], v[68:69], off offset:32
	s_nop 0
	global_load_dwordx4 v[68:71], v[68:69], off offset:16
	s_waitcnt vmcnt(2) lgkmcnt(2)
	v_mul_f64 v[228:229], v[38:39], v[74:75]
	v_fma_f64 v[228:229], v[36:37], v[72:73], -v[228:229]
	v_mul_f64 v[230:231], v[36:37], v[74:75]
	s_waitcnt vmcnt(0) lgkmcnt(1)
	v_mul_f64 v[36:37], v[34:35], v[70:71]
	v_fma_f64 v[232:233], v[32:33], v[68:69], -v[36:37]
	v_mul_f64 v[234:235], v[32:33], v[70:71]
	s_waitcnt lgkmcnt(0)
	v_mul_f64 v[32:33], v[30:31], v[66:67]
	v_fma_f64 v[236:237], v[28:29], v[64:65], -v[32:33]
	v_mul_f64 v[238:239], v[28:29], v[66:67]
	v_mul_hi_i32_i24_e32 v29, 48, v242
	v_mul_i32_i24_e32 v28, 48, v242
	v_lshl_add_u64 v[28:29], s[10:11], 0, v[28:29]
	v_fmac_f64_e32 v[238:239], v[30:31], v[64:65]
	v_lshl_add_u64 v[30:31], v[28:29], 0, s[2:3]
	v_add_co_u32_e64 v28, s[0:1], s14, v28
	v_fmac_f64_e32 v[230:231], v[38:39], v[72:73]
	s_nop 0
	v_addc_co_u32_e64 v29, s[0:1], 0, v29, s[0:1]
	v_fmac_f64_e32 v[234:235], v[34:35], v[68:69]
	global_load_dwordx4 v[32:35], v[28:29], off offset:1280
	global_load_dwordx4 v[242:245], v[30:31], off offset:32
	;; [unrolled: 1-line block ×3, first 2 shown]
	s_waitcnt vmcnt(2)
	v_mul_f64 v[28:29], v[82:83], v[34:35]
	v_mul_f64 v[30:31], v[80:81], v[34:35]
	v_accvgpr_write_b32 a209, v35
	v_fma_f64 v[28:29], v[80:81], v[32:33], -v[28:29]
	v_accvgpr_write_b32 a208, v34
	v_accvgpr_write_b32 a207, v33
	;; [unrolled: 1-line block ×3, first 2 shown]
	v_fmac_f64_e32 v[30:31], v[82:83], v[32:33]
	s_waitcnt vmcnt(0)
	v_mul_f64 v[32:33], v[158:159], v[38:39]
	v_mul_f64 v[34:35], v[156:157], v[38:39]
	v_accvgpr_write_b32 a217, v39
	v_fma_f64 v[32:33], v[156:157], v[36:37], -v[32:33]
	v_accvgpr_write_b32 a216, v38
	v_accvgpr_write_b32 a215, v37
	;; [unrolled: 1-line block ×3, first 2 shown]
	v_fmac_f64_e32 v[34:35], v[158:159], v[36:37]
	v_mul_f64 v[36:37], v[162:163], v[244:245]
	v_mul_f64 v[38:39], v[160:161], v[244:245]
	v_fma_f64 v[36:37], v[160:161], v[242:243], -v[36:37]
	v_fmac_f64_e32 v[38:39], v[162:163], v[242:243]
	v_add_f64 v[80:81], v[152:153], -v[170:171]
	v_add_f64 v[82:83], v[154:155], -v[172:173]
	v_add_f64 v[162:163], v[166:167], -v[174:175]
	v_add_f64 v[160:161], v[168:169], -v[176:177]
	v_fma_f64 v[156:157], v[152:153], 2.0, -v[80:81]
	v_fma_f64 v[158:159], v[154:155], 2.0, -v[82:83]
	v_fma_f64 v[152:153], v[166:167], 2.0, -v[162:163]
	v_fma_f64 v[154:155], v[168:169], 2.0, -v[160:161]
	v_add_f64 v[160:161], v[80:81], -v[160:161]
	v_add_f64 v[162:163], v[82:83], v[162:163]
	v_fma_f64 v[166:167], v[80:81], 2.0, -v[160:161]
	v_fma_f64 v[168:169], v[82:83], 2.0, -v[162:163]
	v_add_f64 v[80:81], v[100:101], -v[182:183]
	v_add_f64 v[82:83], v[102:103], -v[184:185]
	v_add_f64 v[176:177], v[178:179], -v[186:187]
	v_add_f64 v[174:175], v[180:181], -v[188:189]
	v_fma_f64 v[170:171], v[100:101], 2.0, -v[80:81]
	v_fma_f64 v[172:173], v[102:103], 2.0, -v[82:83]
	v_fma_f64 v[100:101], v[178:179], 2.0, -v[176:177]
	v_fma_f64 v[102:103], v[180:181], 2.0, -v[174:175]
	v_add_f64 v[174:175], v[80:81], -v[174:175]
	v_add_f64 v[176:177], v[82:83], v[176:177]
	v_fma_f64 v[178:179], v[80:81], 2.0, -v[174:175]
	v_fma_f64 v[180:181], v[82:83], 2.0, -v[176:177]
	;; [unrolled: 12-line block ×3, first 2 shown]
	v_add_f64 v[80:81], v[92:93], -v[208:209]
	v_add_f64 v[82:83], v[94:95], -v[210:211]
	;; [unrolled: 1-line block ×3, first 2 shown]
	v_fma_f64 v[194:195], v[92:93], 2.0, -v[80:81]
	v_add_f64 v[198:199], v[164:165], -v[214:215]
	v_fma_f64 v[92:93], v[202:203], 2.0, -v[200:201]
	v_add_f64 v[200:201], v[82:83], v[200:201]
	v_fma_f64 v[196:197], v[94:95], 2.0, -v[82:83]
	v_fma_f64 v[94:95], v[164:165], 2.0, -v[198:199]
	v_add_f64 v[198:199], v[80:81], -v[198:199]
	v_fma_f64 v[210:211], v[82:83], 2.0, -v[200:201]
	v_add_f64 v[82:83], v[90:91], -v[222:223]
	v_add_f64 v[202:203], v[218:219], -v[226:227]
	v_fma_f64 v[208:209], v[80:81], 2.0, -v[198:199]
	v_add_f64 v[80:81], v[88:89], -v[220:221]
	v_fma_f64 v[90:91], v[90:91], 2.0, -v[82:83]
	;; [unrolled: 2-line block ×3, first 2 shown]
	v_fma_f64 v[88:89], v[88:89], 2.0, -v[80:81]
	v_fma_f64 v[212:213], v[216:217], 2.0, -v[164:165]
	v_add_f64 v[214:215], v[90:91], -v[214:215]
	v_add_f64 v[222:223], v[82:83], v[164:165]
	v_add_f64 v[212:213], v[88:89], -v[212:213]
	v_fma_f64 v[218:219], v[90:91], 2.0, -v[214:215]
	v_add_f64 v[220:221], v[80:81], -v[202:203]
	v_fma_f64 v[226:227], v[82:83], 2.0, -v[222:223]
	v_add_f64 v[82:83], v[86:87], -v[234:235]
	v_add_f64 v[90:91], v[230:231], -v[238:239]
	v_fma_f64 v[216:217], v[88:89], 2.0, -v[212:213]
	v_fma_f64 v[224:225], v[80:81], 2.0, -v[220:221]
	v_add_f64 v[80:81], v[84:85], -v[232:233]
	v_fma_f64 v[86:87], v[86:87], 2.0, -v[82:83]
	v_add_f64 v[88:89], v[228:229], -v[236:237]
	v_fma_f64 v[202:203], v[230:231], 2.0, -v[90:91]
	v_fma_f64 v[84:85], v[84:85], 2.0, -v[80:81]
	;; [unrolled: 1-line block ×3, first 2 shown]
	v_add_f64 v[230:231], v[86:87], -v[202:203]
	v_add_f64 v[236:237], v[80:81], -v[90:91]
	;; [unrolled: 1-line block ×5, first 2 shown]
	v_fma_f64 v[234:235], v[86:87], 2.0, -v[230:231]
	v_add_f64 v[238:239], v[82:83], v[88:89]
	v_add_f64 v[88:89], v[76:77], -v[32:33]
	v_fma_f64 v[86:87], v[78:79], 2.0, -v[90:91]
	v_add_f64 v[32:33], v[28:29], -v[36:37]
	v_fma_f64 v[30:31], v[30:31], 2.0, -v[34:35]
	v_fma_f64 v[232:233], v[84:85], 2.0, -v[228:229]
	;; [unrolled: 1-line block ×4, first 2 shown]
	v_add_f64 v[30:31], v[86:87], -v[30:31]
	v_add_f64 v[28:29], v[84:85], -v[28:29]
	v_accvgpr_write_b32 a221, v31
	v_accvgpr_write_b32 a220, v30
	;; [unrolled: 1-line block ×4, first 2 shown]
	v_add_f64 v[30:31], v[90:91], v[32:33]
	v_accvgpr_write_b32 a210, v242
	v_add_f64 v[152:153], v[156:157], -v[152:153]
	v_add_f64 v[154:155], v[158:159], -v[154:155]
	;; [unrolled: 1-line block ×3, first 2 shown]
	v_accvgpr_write_b32 a225, v31
	v_accvgpr_write_b32 a211, v243
	;; [unrolled: 1-line block ×4, first 2 shown]
	v_fma_f64 v[156:157], v[156:157], 2.0, -v[152:153]
	v_fma_f64 v[158:159], v[158:159], 2.0, -v[154:155]
	v_add_f64 v[100:101], v[170:171], -v[100:101]
	v_add_f64 v[102:103], v[172:173], -v[102:103]
	;; [unrolled: 1-line block ×6, first 2 shown]
	v_accvgpr_write_b32 a224, v30
	v_accvgpr_write_b32 a223, v29
	;; [unrolled: 1-line block ×3, first 2 shown]
	v_fma_f64 v[170:171], v[170:171], 2.0, -v[100:101]
	v_fma_f64 v[172:173], v[172:173], 2.0, -v[102:103]
	;; [unrolled: 1-line block ×8, first 2 shown]
	ds_write_b128 v204, v[156:159]
	ds_write_b128 v204, v[166:169] offset:5408
	ds_write_b128 v204, v[152:155] offset:10816
	;; [unrolled: 1-line block ×23, first 2 shown]
	s_and_saveexec_b64 s[0:1], vcc
	s_cbranch_execz .LBB0_7
; %bb.6:
	v_accvgpr_read_b32 v28, a218
	v_accvgpr_read_b32 v32, a222
	;; [unrolled: 1-line block ×8, first 2 shown]
	v_fma_f64 v[86:87], v[86:87], 2.0, -v[30:31]
	v_fma_f64 v[84:85], v[84:85], 2.0, -v[28:29]
	;; [unrolled: 1-line block ×4, first 2 shown]
	ds_write_b128 v204, v[84:87] offset:4992
	ds_write_b128 v204, v[88:91] offset:10400
	;; [unrolled: 1-line block ×4, first 2 shown]
.LBB0_7:
	s_or_b64 exec, exec, s[0:1]
	s_add_u32 s2, s8, 0x5480
	s_addc_u32 s3, s9, 0
	v_lshlrev_b32_e32 v188, 4, v206
	s_waitcnt lgkmcnt(0)
	; wave barrier
	s_waitcnt lgkmcnt(0)
	global_load_dwordx4 v[84:87], v188, s[2:3]
	global_load_dwordx4 v[92:95], v188, s[2:3] offset:832
	global_load_dwordx4 v[160:163], v188, s[2:3] offset:1664
	v_mov_b32_e32 v189, 0
	v_lshl_add_u64 v[194:195], s[2:3], 0, v[188:189]
	v_add_co_u32_e64 v192, s[0:1], s16, v194
	v_accvgpr_read_b32 v28, a25
	s_nop 0
	v_addc_co_u32_e64 v193, s[0:1], 0, v195, s[0:1]
	global_load_dwordx4 v[156:159], v[192:193], off offset:2624
	global_load_dwordx4 v[96:99], v[192:193], off offset:3456
	v_add_co_u32_e64 v196, s[0:1], s17, v194
	s_movk_i32 s8, 0x5000
	s_nop 0
	v_addc_co_u32_e64 v197, s[0:1], 0, v195, s[0:1]
	global_load_dwordx4 v[152:155], v[196:197], off offset:192
	global_load_dwordx4 v[100:103], v188, s[2:3] offset:2496
	ds_read_b128 v[176:179], v204
	ds_read_b128 v[172:175], v204 offset:832
	global_load_dwordx4 v[164:167], v28, s[2:3]
	ds_read_b128 v[184:187], v204 offset:1664
	ds_read_b128 v[168:171], v204 offset:2496
	;; [unrolled: 1-line block ×4, first 2 shown]
	global_load_dwordx4 v[198:201], v188, s[2:3] offset:3328
	v_add_co_u32_e64 v28, s[0:1], s14, v194
	global_load_dwordx4 v[208:211], v[196:197], off offset:1856
	s_nop 0
	v_addc_co_u32_e64 v29, s[0:1], 0, v195, s[0:1]
	global_load_dwordx4 v[216:219], v[28:29], off offset:64
	v_add_co_u32_e64 v30, s[0:1], s8, v194
	s_mov_b32 s18, 0x4267c47c
	s_nop 0
	v_addc_co_u32_e64 v31, s[0:1], 0, v195, s[0:1]
	global_load_dwordx4 v[188:191], v[30:31], off offset:320
	s_mov_b32 s10, 0x42a4c3d2
	s_mov_b32 s2, 0xebaa3ed8
	;; [unrolled: 1-line block ×27, first 2 shown]
	global_load_dwordx4 v[220:223], v[196:197], off offset:3520
	s_waitcnt vmcnt(12) lgkmcnt(5)
	v_mul_f64 v[30:31], v[178:179], v[86:87]
	v_mul_f64 v[214:215], v[176:177], v[86:87]
	v_fma_f64 v[212:213], v[176:177], v[84:85], -v[30:31]
	v_fmac_f64_e32 v[214:215], v[178:179], v[84:85]
	s_waitcnt vmcnt(11) lgkmcnt(4)
	v_mul_f64 v[30:31], v[174:175], v[94:95]
	v_mul_f64 v[178:179], v[172:173], v[94:95]
	v_fma_f64 v[176:177], v[172:173], v[92:93], -v[30:31]
	v_fmac_f64_e32 v[178:179], v[174:175], v[92:93]
	s_waitcnt vmcnt(10) lgkmcnt(3)
	v_mul_f64 v[30:31], v[186:187], v[162:163]
	v_mul_f64 v[174:175], v[184:185], v[162:163]
	global_load_dwordx4 v[84:87], v[196:197], off offset:2688
	v_fma_f64 v[172:173], v[184:185], v[160:161], -v[30:31]
	v_fmac_f64_e32 v[174:175], v[186:187], v[160:161]
	ds_read_b128 v[184:187], v204 offset:11648
	global_load_dwordx4 v[92:95], v[28:29], off offset:896
	s_waitcnt vmcnt(11) lgkmcnt(2)
	v_mul_f64 v[30:31], v[182:183], v[158:159]
	v_mul_f64 v[160:161], v[180:181], v[158:159]
	v_fma_f64 v[158:159], v[180:181], v[156:157], -v[30:31]
	v_fmac_f64_e32 v[160:161], v[182:183], v[156:157]
	ds_read_b128 v[180:183], v204 offset:12480
	s_waitcnt vmcnt(10) lgkmcnt(1)
	v_mul_f64 v[30:31], v[186:187], v[98:99]
	v_mul_f64 v[226:227], v[184:185], v[98:99]
	v_fma_f64 v[224:225], v[184:185], v[96:97], -v[30:31]
	v_fmac_f64_e32 v[226:227], v[186:187], v[96:97]
	global_load_dwordx4 v[96:99], v[28:29], off offset:1728
	v_add_co_u32_e64 v30, s[0:1], s15, v194
	s_waitcnt vmcnt(10) lgkmcnt(0)
	v_mul_f64 v[32:33], v[182:183], v[154:155]
	v_addc_co_u32_e64 v31, s[0:1], 0, v195, s[0:1]
	v_mul_f64 v[186:187], v[180:181], v[154:155]
	v_fma_f64 v[184:185], v[180:181], v[152:153], -v[32:33]
	v_fmac_f64_e32 v[186:187], v[182:183], v[152:153]
	global_load_dwordx4 v[152:155], v[30:31], off offset:256
	global_load_dwordx4 v[180:183], v[28:29], off offset:2560
	;; [unrolled: 1-line block ×3, first 2 shown]
	ds_write_b128 v204, v[212:215]
	ds_write_b128 v204, v[176:179] offset:832
	global_load_dwordx4 v[176:179], v[28:29], off offset:3392
	s_waitcnt vmcnt(13)
	v_mul_f64 v[28:29], v[170:171], v[102:103]
	ds_write_b128 v204, v[172:175] offset:1664
	ds_write_b128 v204, v[158:161] offset:10816
	;; [unrolled: 1-line block ×4, first 2 shown]
	v_mul_f64 v[158:159], v[168:169], v[102:103]
	v_fma_f64 v[156:157], v[168:169], v[100:101], -v[28:29]
	v_fmac_f64_e32 v[158:159], v[170:171], v[100:101]
	ds_read_b128 v[100:103], v204 offset:13312
	global_load_dwordx4 v[160:163], v[30:31], off offset:1920
	ds_read_b128 v[184:187], v204 offset:3328
	global_load_dwordx4 v[168:171], v[192:193], off offset:128
	ds_write_b128 v204, v[156:159] offset:2496
	ds_read_b128 v[156:159], v204 offset:14144
	s_waitcnt vmcnt(14) lgkmcnt(3)
	v_mul_f64 v[28:29], v[102:103], v[166:167]
	v_mul_f64 v[174:175], v[100:101], v[166:167]
	v_fma_f64 v[172:173], v[100:101], v[164:165], -v[28:29]
	v_fmac_f64_e32 v[174:175], v[102:103], v[164:165]
	global_load_dwordx4 v[164:167], v[30:31], off offset:2752
	ds_write_b128 v204, v[172:175] offset:13312
	ds_read_b128 v[100:103], v204 offset:4160
	s_waitcnt vmcnt(14) lgkmcnt(4)
	v_mul_f64 v[28:29], v[186:187], v[200:201]
	v_mul_f64 v[174:175], v[184:185], v[200:201]
	v_fma_f64 v[172:173], v[184:185], v[198:199], -v[28:29]
	v_fmac_f64_e32 v[174:175], v[186:187], v[198:199]
	ds_write_b128 v204, v[172:175] offset:3328
	global_load_dwordx4 v[172:175], v[192:193], off offset:960
	s_waitcnt vmcnt(14) lgkmcnt(3)
	v_mul_f64 v[28:29], v[158:159], v[210:211]
	v_mul_f64 v[186:187], v[156:157], v[210:211]
	v_fma_f64 v[184:185], v[156:157], v[208:209], -v[28:29]
	v_fmac_f64_e32 v[186:187], v[158:159], v[208:209]
	global_load_dwordx4 v[156:159], v[30:31], off offset:3584
	ds_write_b128 v204, v[184:187] offset:14144
	s_waitcnt vmcnt(14) lgkmcnt(2)
	v_mul_f64 v[28:29], v[102:103], v[218:219]
	v_mul_f64 v[186:187], v[100:101], v[218:219]
	v_fma_f64 v[184:185], v[100:101], v[216:217], -v[28:29]
	v_fmac_f64_e32 v[186:187], v[102:103], v[216:217]
	global_load_dwordx4 v[100:103], v[192:193], off offset:1792
	ds_read_b128 v[198:201], v204 offset:14976
	ds_read_b128 v[212:215], v204 offset:4992
	ds_write_b128 v204, v[184:187] offset:4160
	ds_read_b128 v[184:187], v204 offset:15808
	s_mov_b32 s14, 0x1ea71119
	s_mov_b32 s0, 0x66966769
	;; [unrolled: 1-line block ×5, first 2 shown]
	s_waitcnt vmcnt(12) lgkmcnt(3)
	v_mul_f64 v[28:29], v[200:201], v[86:87]
	v_mul_f64 v[210:211], v[198:199], v[86:87]
	v_fma_f64 v[208:209], v[198:199], v[84:85], -v[28:29]
	v_fmac_f64_e32 v[210:211], v[200:201], v[84:85]
	ds_read_b128 v[84:87], v204 offset:5824
	s_waitcnt vmcnt(11) lgkmcnt(3)
	v_mul_f64 v[28:29], v[214:215], v[94:95]
	v_fma_f64 v[198:199], v[212:213], v[92:93], -v[28:29]
	v_mul_f64 v[200:201], v[212:213], v[94:95]
	s_waitcnt lgkmcnt(1)
	v_mul_f64 v[28:29], v[186:187], v[222:223]
	v_mul_f64 v[94:95], v[184:185], v[222:223]
	v_fmac_f64_e32 v[200:201], v[214:215], v[92:93]
	v_fma_f64 v[92:93], v[184:185], v[220:221], -v[28:29]
	v_fmac_f64_e32 v[94:95], v[186:187], v[220:221]
	ds_read_b128 v[184:187], v204 offset:16640
	ds_write_b128 v204, v[92:95] offset:15808
	s_waitcnt vmcnt(10) lgkmcnt(2)
	v_mul_f64 v[28:29], v[86:87], v[98:99]
	v_mul_f64 v[94:95], v[84:85], v[98:99]
	v_fma_f64 v[92:93], v[84:85], v[96:97], -v[28:29]
	v_fmac_f64_e32 v[94:95], v[86:87], v[96:97]
	ds_read_b128 v[84:87], v204 offset:17472
	ds_read_b128 v[96:99], v204 offset:6656
	ds_write_b128 v204, v[92:95] offset:5824
	s_waitcnt vmcnt(9) lgkmcnt(4)
	v_mul_f64 v[28:29], v[186:187], v[154:155]
	v_mul_f64 v[94:95], v[184:185], v[154:155]
	v_fma_f64 v[92:93], v[184:185], v[152:153], -v[28:29]
	v_fmac_f64_e32 v[94:95], v[186:187], v[152:153]
	ds_write_b128 v204, v[92:95] offset:16640
	ds_read_b128 v[92:95], v204 offset:7488
	s_waitcnt vmcnt(8) lgkmcnt(3)
	v_mul_f64 v[28:29], v[98:99], v[182:183]
	v_mul_f64 v[154:155], v[96:97], v[182:183]
	v_fma_f64 v[152:153], v[96:97], v[180:181], -v[28:29]
	v_fmac_f64_e32 v[154:155], v[98:99], v[180:181]
	s_waitcnt vmcnt(7)
	v_mul_f64 v[28:29], v[86:87], v[196:197]
	v_mul_f64 v[98:99], v[84:85], v[196:197]
	v_fma_f64 v[96:97], v[84:85], v[194:195], -v[28:29]
	v_fmac_f64_e32 v[98:99], v[86:87], v[194:195]
	ds_write_b128 v204, v[96:99] offset:17472
	ds_read_b128 v[96:99], v204 offset:18304
	ds_write_b128 v204, v[152:155] offset:6656
	s_waitcnt vmcnt(6) lgkmcnt(3)
	v_mul_f64 v[28:29], v[94:95], v[178:179]
	v_mul_f64 v[86:87], v[92:93], v[178:179]
	ds_read_b128 v[152:155], v204 offset:8320
	v_fma_f64 v[84:85], v[92:93], v[176:177], -v[28:29]
	v_fmac_f64_e32 v[86:87], v[94:95], v[176:177]
	ds_write_b128 v204, v[84:87] offset:7488
	ds_read_b128 v[84:87], v204 offset:19136
	s_waitcnt vmcnt(5) lgkmcnt(4)
	v_mul_f64 v[28:29], v[98:99], v[162:163]
	v_mul_f64 v[94:95], v[96:97], v[162:163]
	v_fma_f64 v[92:93], v[96:97], v[160:161], -v[28:29]
	v_fmac_f64_e32 v[94:95], v[98:99], v[160:161]
	ds_write_b128 v204, v[92:95] offset:18304
	ds_read_b128 v[92:95], v204 offset:9152
	s_waitcnt vmcnt(4) lgkmcnt(4)
	v_mul_f64 v[28:29], v[154:155], v[170:171]
	v_mul_f64 v[98:99], v[152:153], v[170:171]
	v_fma_f64 v[96:97], v[152:153], v[168:169], -v[28:29]
	v_fmac_f64_e32 v[98:99], v[154:155], v[168:169]
	ds_write_b128 v204, v[96:99] offset:8320
	s_waitcnt vmcnt(3) lgkmcnt(3)
	v_mul_f64 v[28:29], v[86:87], v[166:167]
	v_mul_f64 v[98:99], v[84:85], v[166:167]
	v_fma_f64 v[96:97], v[84:85], v[164:165], -v[28:29]
	v_fmac_f64_e32 v[98:99], v[86:87], v[164:165]
	ds_write_b128 v204, v[96:99] offset:19136
	ds_read_b128 v[96:99], v204 offset:19968
	s_waitcnt vmcnt(2) lgkmcnt(3)
	v_mul_f64 v[28:29], v[94:95], v[174:175]
	v_mul_f64 v[86:87], v[92:93], v[174:175]
	v_fma_f64 v[84:85], v[92:93], v[172:173], -v[28:29]
	v_fmac_f64_e32 v[86:87], v[94:95], v[172:173]
	ds_write_b128 v204, v[84:87] offset:9152
	ds_read_b128 v[84:87], v204 offset:20800
	s_waitcnt vmcnt(1) lgkmcnt(2)
	v_mul_f64 v[28:29], v[98:99], v[158:159]
	v_mul_f64 v[94:95], v[96:97], v[158:159]
	v_fma_f64 v[92:93], v[96:97], v[156:157], -v[28:29]
	v_fmac_f64_e32 v[94:95], v[98:99], v[156:157]
	ds_write_b128 v204, v[92:95] offset:19968
	s_waitcnt vmcnt(0)
	v_mul_f64 v[28:29], v[90:91], v[102:103]
	v_mul_f64 v[94:95], v[88:89], v[102:103]
	v_fma_f64 v[92:93], v[88:89], v[100:101], -v[28:29]
	v_fmac_f64_e32 v[94:95], v[90:91], v[100:101]
	s_waitcnt lgkmcnt(1)
	v_mul_f64 v[28:29], v[86:87], v[190:191]
	v_mul_f64 v[90:91], v[84:85], v[190:191]
	v_fma_f64 v[88:89], v[84:85], v[188:189], -v[28:29]
	v_fmac_f64_e32 v[90:91], v[86:87], v[188:189]
	ds_write_b128 v204, v[208:211] offset:14976
	ds_write_b128 v204, v[198:201] offset:4992
	;; [unrolled: 1-line block ×4, first 2 shown]
	s_waitcnt lgkmcnt(0)
	; wave barrier
	s_waitcnt lgkmcnt(0)
	ds_read_b128 v[208:211], v204 offset:10816
	ds_read_b128 v[212:215], v204
	ds_read_b128 v[84:87], v204 offset:832
	ds_read_b128 v[88:91], v204 offset:11648
	;; [unrolled: 1-line block ×18, first 2 shown]
	s_waitcnt lgkmcnt(14)
	v_add_f64 v[208:209], v[212:213], -v[208:209]
	v_add_f64 v[210:211], v[214:215], -v[210:211]
	v_fma_f64 v[212:213], v[212:213], 2.0, -v[208:209]
	v_fma_f64 v[214:215], v[214:215], 2.0, -v[210:211]
	v_accvgpr_read_b32 v28, a109
	v_add_f64 v[88:89], v[84:85], -v[88:89]
	v_add_f64 v[90:91], v[86:87], -v[90:91]
	ds_read_b128 v[216:219], v204 offset:18304
	ds_read_b128 v[220:223], v204 offset:19136
	;; [unrolled: 1-line block ×6, first 2 shown]
	s_waitcnt lgkmcnt(0)
	; wave barrier
	s_waitcnt lgkmcnt(0)
	ds_write_b128 v28, v[212:215]
	ds_write_b128 v28, v[208:211] offset:16
	v_fma_f64 v[84:85], v[84:85], 2.0, -v[88:89]
	v_fma_f64 v[86:87], v[86:87], 2.0, -v[90:91]
	v_accvgpr_read_b32 v28, a108
	ds_write_b128 v28, v[84:87]
	ds_write_b128 v28, v[88:91] offset:16
	v_add_f64 v[84:85], v[92:93], -v[96:97]
	v_add_f64 v[86:87], v[94:95], -v[98:99]
	v_fma_f64 v[88:89], v[92:93], 2.0, -v[84:85]
	v_fma_f64 v[90:91], v[94:95], 2.0, -v[86:87]
	v_add_f64 v[92:93], v[100:101], -v[152:153]
	v_add_f64 v[94:95], v[102:103], -v[154:155]
	v_fma_f64 v[96:97], v[100:101], 2.0, -v[92:93]
	v_fma_f64 v[98:99], v[102:103], 2.0, -v[94:95]
	;; [unrolled: 4-line block ×3, first 2 shown]
	v_add_f64 v[156:157], v[164:165], -v[168:169]
	v_add_f64 v[158:159], v[166:167], -v[170:171]
	v_accvgpr_read_b32 v28, a233
	v_fma_f64 v[160:161], v[164:165], 2.0, -v[156:157]
	v_fma_f64 v[162:163], v[166:167], 2.0, -v[158:159]
	v_add_f64 v[164:165], v[172:173], -v[176:177]
	v_add_f64 v[166:167], v[174:175], -v[178:179]
	ds_write_b128 v247, v[88:91]
	ds_write_b128 v247, v[84:87] offset:16
	ds_write_b128 v246, v[96:99]
	ds_write_b128 v246, v[92:95] offset:16
	;; [unrolled: 2-line block ×3, first 2 shown]
	v_accvgpr_read_b32 v28, a232
	v_fma_f64 v[168:169], v[172:173], 2.0, -v[164:165]
	v_fma_f64 v[170:171], v[174:175], 2.0, -v[166:167]
	v_add_f64 v[172:173], v[180:181], -v[184:185]
	v_add_f64 v[174:175], v[182:183], -v[186:187]
	ds_write_b128 v28, v[160:163]
	ds_write_b128 v28, v[156:159] offset:16
	v_accvgpr_read_b32 v28, a95
	v_fma_f64 v[176:177], v[180:181], 2.0, -v[172:173]
	v_fma_f64 v[178:179], v[182:183], 2.0, -v[174:175]
	v_add_f64 v[180:181], v[192:193], -v[196:197]
	v_add_f64 v[182:183], v[194:195], -v[198:199]
	ds_write_b128 v28, v[168:171]
	ds_write_b128 v28, v[164:167] offset:16
	;; [unrolled: 7-line block ×6, first 2 shown]
	v_accvgpr_read_b32 v28, a227
	v_fma_f64 v[188:189], v[188:189], 2.0, -v[220:221]
	v_fma_f64 v[190:191], v[190:191], 2.0, -v[222:223]
	ds_write_b128 v28, v[216:219]
	ds_write_b128 v28, v[212:215] offset:16
	v_accvgpr_read_b32 v28, a226
	ds_write_b128 v28, v[188:191]
	ds_write_b128 v28, v[220:223] offset:16
	s_waitcnt lgkmcnt(0)
	; wave barrier
	s_waitcnt lgkmcnt(0)
	ds_read_b128 v[92:95], v204
	ds_read_b128 v[84:87], v204 offset:832
	ds_read_b128 v[176:179], v204 offset:1664
	;; [unrolled: 1-line block ×23, first 2 shown]
	s_waitcnt lgkmcnt(14)
	v_mul_f64 v[80:81], v[146:147], v[176:177]
	v_fma_f64 v[236:237], v[144:145], v[178:179], -v[80:81]
	v_mul_f64 v[80:81], v[130:131], v[184:185]
	v_fma_f64 v[220:221], v[128:129], v[186:187], -v[80:81]
	v_mul_f64 v[80:81], v[146:147], v[180:181]
	v_mul_f64 v[218:219], v[130:131], v[186:187]
	;; [unrolled: 1-line block ×3, first 2 shown]
	v_fma_f64 v[192:193], v[144:145], v[182:183], -v[80:81]
	v_mul_f64 v[182:183], v[130:131], v[196:197]
	v_mul_f64 v[80:81], v[130:131], v[194:195]
	v_fmac_f64_e32 v[218:219], v[128:129], v[184:185]
	v_fmac_f64_e32 v[182:183], v[128:129], v[194:195]
	v_fma_f64 v[184:185], v[128:129], v[196:197], -v[80:81]
	v_mul_f64 v[128:129], v[122:123], v[198:199]
	v_mul_f64 v[234:235], v[146:147], v[178:179]
	v_fma_f64 v[224:225], v[120:121], v[200:201], -v[128:129]
	v_mul_f64 v[210:211], v[106:107], v[214:215]
	v_mul_f64 v[128:129], v[106:107], v[212:213]
	s_waitcnt lgkmcnt(7)
	v_mul_f64 v[202:203], v[110:111], v[30:31]
	v_fmac_f64_e32 v[234:235], v[144:145], v[176:177]
	v_fmac_f64_e32 v[190:191], v[144:145], v[180:181]
	ds_read_b128 v[144:147], v204 offset:19968
	ds_read_b128 v[80:83], v204 offset:20800
	v_fmac_f64_e32 v[210:211], v[104:105], v[212:213]
	v_fma_f64 v[212:213], v[104:105], v[214:215], -v[128:129]
	v_fmac_f64_e32 v[202:203], v[108:109], v[28:29]
	v_mul_f64 v[28:29], v[110:111], v[28:29]
	s_waitcnt lgkmcnt(7)
	v_mul_f64 v[214:215], v[150:151], v[34:35]
	v_fma_f64 v[208:209], v[108:109], v[30:31], -v[28:29]
	v_fmac_f64_e32 v[214:215], v[148:149], v[32:33]
	v_mul_f64 v[28:29], v[150:151], v[32:33]
	v_mul_f64 v[32:33], v[122:123], v[172:173]
	v_fma_f64 v[188:189], v[120:121], v[174:175], -v[32:33]
	v_mul_f64 v[32:33], v[106:107], v[88:89]
	v_mul_f64 v[222:223], v[122:123], v[200:201]
	;; [unrolled: 1-line block ×4, first 2 shown]
	v_fma_f64 v[216:217], v[148:149], v[34:35], -v[28:29]
	s_waitcnt lgkmcnt(5)
	v_mul_f64 v[28:29], v[138:139], v[36:37]
	v_fma_f64 v[180:181], v[104:105], v[90:91], -v[32:33]
	v_mul_f64 v[32:33], v[142:143], v[96:97]
	v_fmac_f64_e32 v[222:223], v[120:121], v[198:199]
	v_mul_f64 v[198:199], v[142:143], v[228:229]
	v_fma_f64 v[200:201], v[140:141], v[228:229], -v[128:129]
	v_mul_f64 v[130:131], v[118:119], v[230:231]
	v_fma_f64 v[196:197], v[112:113], v[244:245], -v[176:177]
	v_fma_f64 v[228:229], v[136:137], v[38:39], -v[28:29]
	s_waitcnt lgkmcnt(3)
	v_mul_f64 v[28:29], v[134:135], v[76:77]
	s_waitcnt lgkmcnt(1)
	v_mul_f64 v[30:31], v[126:127], v[144:145]
	v_mul_f64 v[186:187], v[122:123], v[174:175]
	v_fma_f64 v[176:177], v[140:141], v[98:99], -v[32:33]
	v_mul_f64 v[32:33], v[118:119], v[100:101]
	v_mul_f64 v[128:129], v[118:119], v[232:233]
	v_fma_f64 v[130:131], v[116:117], v[232:233], -v[130:131]
	v_fma_f64 v[232:233], v[132:133], v[78:79], -v[28:29]
	v_mul_f64 v[28:29], v[126:127], v[146:147]
	v_fma_f64 v[30:31], v[124:125], v[146:147], -v[30:31]
	v_fmac_f64_e32 v[186:187], v[120:121], v[172:173]
	v_fma_f64 v[146:147], v[116:117], v[102:103], -v[32:33]
	v_mul_f64 v[172:173], v[114:115], v[154:155]
	v_mul_f64 v[32:33], v[114:115], v[152:153]
	v_fmac_f64_e32 v[172:173], v[112:113], v[152:153]
	v_fma_f64 v[152:153], v[112:113], v[154:155], -v[32:33]
	v_mul_f64 v[154:155], v[110:111], v[158:159]
	v_mul_f64 v[32:33], v[110:111], v[156:157]
	;; [unrolled: 4-line block ×3, first 2 shown]
	v_fmac_f64_e32 v[158:159], v[148:149], v[160:161]
	v_fma_f64 v[148:149], v[148:149], v[162:163], -v[32:33]
	v_mul_f64 v[32:33], v[138:139], v[168:169]
	v_fma_f64 v[160:161], v[136:137], v[170:171], -v[32:33]
	v_mul_f64 v[162:163], v[134:135], v[166:167]
	v_mul_f64 v[32:33], v[134:135], v[164:165]
	;; [unrolled: 1-line block ×3, first 2 shown]
	v_fmac_f64_e32 v[162:163], v[132:133], v[164:165]
	v_fma_f64 v[164:165], v[132:133], v[166:167], -v[32:33]
	s_waitcnt lgkmcnt(0)
	v_mul_f64 v[32:33], v[126:127], v[80:81]
	v_add_f64 v[34:35], v[94:95], v[236:237]
	v_fmac_f64_e32 v[150:151], v[136:137], v[168:169]
	v_fma_f64 v[168:169], v[124:125], v[82:83], -v[32:33]
	v_add_f64 v[32:33], v[92:93], v[234:235]
	v_add_f64 v[34:35], v[34:35], v[220:221]
	;; [unrolled: 1-line block ×6, first 2 shown]
	v_fmac_f64_e32 v[198:199], v[140:141], v[226:227]
	v_add_f64 v[32:33], v[32:33], v[210:211]
	v_add_f64 v[34:35], v[34:35], v[200:201]
	v_fmac_f64_e32 v[128:129], v[116:117], v[230:231]
	v_mul_f64 v[194:195], v[114:115], v[244:245]
	v_add_f64 v[32:33], v[32:33], v[198:199]
	v_add_f64 v[34:35], v[34:35], v[130:131]
	v_fmac_f64_e32 v[194:195], v[112:113], v[242:243]
	v_add_f64 v[32:33], v[32:33], v[128:129]
	v_add_f64 v[34:35], v[34:35], v[196:197]
	;; [unrolled: 1-line block ×4, first 2 shown]
	v_mul_f64 v[226:227], v[138:139], v[38:39]
	v_add_f64 v[32:33], v[32:33], v[202:203]
	v_add_f64 v[34:35], v[34:35], v[216:217]
	v_fmac_f64_e32 v[226:227], v[136:137], v[36:37]
	v_mul_f64 v[230:231], v[134:135], v[78:79]
	v_add_f64 v[32:33], v[32:33], v[214:215]
	v_add_f64 v[34:35], v[34:35], v[228:229]
	v_fmac_f64_e32 v[230:231], v[132:133], v[76:77]
	v_add_f64 v[32:33], v[32:33], v[226:227]
	v_add_f64 v[34:35], v[34:35], v[232:233]
	v_fmac_f64_e32 v[28:29], v[124:125], v[144:145]
	v_mul_f64 v[178:179], v[106:107], v[90:91]
	v_mul_f64 v[174:175], v[142:143], v[98:99]
	;; [unrolled: 1-line block ×4, first 2 shown]
	v_add_f64 v[32:33], v[32:33], v[230:231]
	v_add_f64 v[90:91], v[34:35], v[30:31]
	v_add_f64 v[34:35], v[236:237], v[30:31]
	v_add_f64 v[30:31], v[236:237], -v[30:31]
	v_fmac_f64_e32 v[178:179], v[104:105], v[88:89]
	v_fmac_f64_e32 v[174:175], v[140:141], v[96:97]
	;; [unrolled: 1-line block ×4, first 2 shown]
	v_add_f64 v[88:89], v[32:33], v[28:29]
	v_add_f64 v[32:33], v[234:235], v[28:29]
	v_add_f64 v[28:29], v[234:235], -v[28:29]
	v_mul_f64 v[36:37], v[30:31], s[18:19]
	v_mul_f64 v[76:77], v[34:35], s[20:21]
	;; [unrolled: 1-line block ×11, first 2 shown]
	v_fma_f64 v[38:39], s[20:21], v[32:33], v[36:37]
	v_fma_f64 v[78:79], s[22:23], v[28:29], v[76:77]
	v_fma_f64 v[36:37], v[32:33], s[20:21], -v[36:37]
	v_fma_f64 v[82:83], s[14:15], v[32:33], v[80:81]
	v_fma_f64 v[98:99], s[16:17], v[28:29], v[96:97]
	v_fma_f64 v[80:81], v[32:33], s[14:15], -v[80:81]
	;; [unrolled: 3-line block ×4, first 2 shown]
	v_fma_f64 v[118:119], s[34:35], v[32:33], v[116:117]
	v_fma_f64 v[116:117], v[32:33], s[34:35], -v[116:117]
	v_fma_f64 v[122:123], s[40:41], v[32:33], v[30:31]
	v_fma_f64 v[30:31], v[32:33], s[40:41], -v[30:31]
	v_fma_f64 v[32:33], s[36:37], v[28:29], v[120:121]
	v_fmac_f64_e32 v[120:121], s[30:31], v[28:29]
	v_mul_f64 v[34:35], v[34:35], s[40:41]
	v_add_f64 v[126:127], v[220:221], -v[232:233]
	v_fmac_f64_e32 v[76:77], s[18:19], v[28:29]
	v_fmac_f64_e32 v[96:97], s[10:11], v[28:29]
	;; [unrolled: 1-line block ×4, first 2 shown]
	v_fma_f64 v[124:125], s[42:43], v[28:29], v[34:35]
	v_fmac_f64_e32 v[34:35], s[38:39], v[28:29]
	v_add_f64 v[28:29], v[92:93], v[38:39]
	v_add_f64 v[38:39], v[94:95], v[78:79]
	v_add_f64 v[36:37], v[92:93], v[36:37]
	v_add_f64 v[78:79], v[92:93], v[82:83]
	v_add_f64 v[82:83], v[94:95], v[98:99]
	v_add_f64 v[80:81], v[92:93], v[80:81]
	v_add_f64 v[98:99], v[92:93], v[102:103]
	v_add_f64 v[102:103], v[94:95], v[106:107]
	v_add_f64 v[100:101], v[92:93], v[100:101]
	v_add_f64 v[106:107], v[92:93], v[110:111]
	v_add_f64 v[110:111], v[94:95], v[114:115]
	v_add_f64 v[108:109], v[92:93], v[108:109]
	v_add_f64 v[114:115], v[92:93], v[118:119]
	v_add_f64 v[116:117], v[92:93], v[116:117]
	v_add_f64 v[118:119], v[94:95], v[120:121]
	v_add_f64 v[120:121], v[92:93], v[122:123]
	v_add_f64 v[30:31], v[92:93], v[30:31]
	v_add_f64 v[92:93], v[218:219], v[230:231]
	v_mul_f64 v[132:133], v[126:127], s[10:11]
	v_add_f64 v[76:77], v[94:95], v[76:77]
	v_add_f64 v[96:97], v[94:95], v[96:97]
	;; [unrolled: 1-line block ×8, first 2 shown]
	v_fma_f64 v[134:135], s[14:15], v[92:93], v[132:133]
	v_add_f64 v[124:125], v[218:219], -v[230:231]
	v_add_f64 v[28:29], v[134:135], v[28:29]
	v_mul_f64 v[134:135], v[94:95], s[14:15]
	v_fma_f64 v[132:133], v[92:93], s[14:15], -v[132:133]
	v_fma_f64 v[136:137], s[16:17], v[124:125], v[134:135]
	v_add_f64 v[36:37], v[132:133], v[36:37]
	v_fmac_f64_e32 v[134:135], s[10:11], v[124:125]
	v_mul_f64 v[132:133], v[126:127], s[24:25]
	v_add_f64 v[76:77], v[134:135], v[76:77]
	v_fma_f64 v[134:135], s[26:27], v[92:93], v[132:133]
	v_add_f64 v[78:79], v[134:135], v[78:79]
	v_mul_f64 v[134:135], v[94:95], s[26:27]
	v_fma_f64 v[132:133], v[92:93], s[26:27], -v[132:133]
	v_add_f64 v[38:39], v[136:137], v[38:39]
	v_fma_f64 v[136:137], s[28:29], v[124:125], v[134:135]
	v_add_f64 v[80:81], v[132:133], v[80:81]
	v_fmac_f64_e32 v[134:135], s[24:25], v[124:125]
	v_mul_f64 v[132:133], v[126:127], s[38:39]
	v_add_f64 v[96:97], v[134:135], v[96:97]
	v_fma_f64 v[134:135], s[40:41], v[92:93], v[132:133]
	v_add_f64 v[98:99], v[134:135], v[98:99]
	v_mul_f64 v[134:135], v[94:95], s[40:41]
	v_fma_f64 v[132:133], v[92:93], s[40:41], -v[132:133]
	v_add_f64 v[82:83], v[136:137], v[82:83]
	v_fma_f64 v[136:137], s[42:43], v[124:125], v[134:135]
	v_add_f64 v[100:101], v[132:133], v[100:101]
	v_fmac_f64_e32 v[134:135], s[38:39], v[124:125]
	v_mul_f64 v[132:133], v[126:127], s[36:37]
	v_add_f64 v[104:105], v[134:135], v[104:105]
	v_fma_f64 v[134:135], s[34:35], v[92:93], v[132:133]
	v_add_f64 v[106:107], v[134:135], v[106:107]
	v_mul_f64 v[134:135], v[94:95], s[34:35]
	v_fma_f64 v[132:133], v[92:93], s[34:35], -v[132:133]
	v_add_f64 v[102:103], v[136:137], v[102:103]
	v_fma_f64 v[136:137], s[30:31], v[124:125], v[134:135]
	v_add_f64 v[108:109], v[132:133], v[108:109]
	v_fmac_f64_e32 v[134:135], s[36:37], v[124:125]
	v_mul_f64 v[132:133], v[126:127], s[8:9]
	v_add_f64 v[112:113], v[134:135], v[112:113]
	v_fma_f64 v[134:135], s[2:3], v[92:93], v[132:133]
	v_fma_f64 v[132:133], v[92:93], s[2:3], -v[132:133]
	v_mul_f64 v[126:127], v[126:127], s[22:23]
	v_add_f64 v[114:115], v[134:135], v[114:115]
	v_mul_f64 v[134:135], v[94:95], s[2:3]
	v_add_f64 v[116:117], v[132:133], v[116:117]
	v_fma_f64 v[132:133], s[20:21], v[92:93], v[126:127]
	v_mul_f64 v[94:95], v[94:95], s[20:21]
	v_add_f64 v[120:121], v[132:133], v[120:121]
	v_fma_f64 v[132:133], s[18:19], v[124:125], v[94:95]
	v_fma_f64 v[92:93], v[92:93], s[20:21], -v[126:127]
	v_add_f64 v[126:127], v[224:225], -v[228:229]
	v_add_f64 v[110:111], v[136:137], v[110:111]
	v_fma_f64 v[136:137], s[0:1], v[124:125], v[134:135]
	v_fmac_f64_e32 v[134:135], s[8:9], v[124:125]
	v_add_f64 v[122:123], v[132:133], v[122:123]
	v_add_f64 v[30:31], v[92:93], v[30:31]
	v_fmac_f64_e32 v[94:95], s[22:23], v[124:125]
	v_add_f64 v[92:93], v[222:223], v[226:227]
	v_mul_f64 v[132:133], v[126:127], s[0:1]
	v_add_f64 v[118:119], v[134:135], v[118:119]
	v_add_f64 v[34:35], v[94:95], v[34:35]
	v_add_f64 v[94:95], v[224:225], v[228:229]
	v_fma_f64 v[134:135], s[2:3], v[92:93], v[132:133]
	v_add_f64 v[124:125], v[222:223], -v[226:227]
	v_add_f64 v[28:29], v[134:135], v[28:29]
	v_mul_f64 v[134:135], v[94:95], s[2:3]
	v_fma_f64 v[132:133], v[92:93], s[2:3], -v[132:133]
	v_add_f64 v[32:33], v[136:137], v[32:33]
	v_fma_f64 v[136:137], s[8:9], v[124:125], v[134:135]
	v_add_f64 v[36:37], v[132:133], v[36:37]
	v_fmac_f64_e32 v[134:135], s[0:1], v[124:125]
	v_mul_f64 v[132:133], v[126:127], s[38:39]
	v_add_f64 v[76:77], v[134:135], v[76:77]
	v_fma_f64 v[134:135], s[40:41], v[92:93], v[132:133]
	v_add_f64 v[78:79], v[134:135], v[78:79]
	v_mul_f64 v[134:135], v[94:95], s[40:41]
	v_fma_f64 v[132:133], v[92:93], s[40:41], -v[132:133]
	v_add_f64 v[38:39], v[136:137], v[38:39]
	v_fma_f64 v[136:137], s[42:43], v[124:125], v[134:135]
	v_add_f64 v[80:81], v[132:133], v[80:81]
	v_fmac_f64_e32 v[134:135], s[38:39], v[124:125]
	v_mul_f64 v[132:133], v[126:127], s[28:29]
	v_add_f64 v[96:97], v[134:135], v[96:97]
	v_fma_f64 v[134:135], s[26:27], v[92:93], v[132:133]
	v_add_f64 v[98:99], v[134:135], v[98:99]
	v_mul_f64 v[134:135], v[94:95], s[26:27]
	v_fma_f64 v[132:133], v[92:93], s[26:27], -v[132:133]
	v_add_f64 v[82:83], v[136:137], v[82:83]
	v_fma_f64 v[136:137], s[24:25], v[124:125], v[134:135]
	v_add_f64 v[100:101], v[132:133], v[100:101]
	v_fmac_f64_e32 v[134:135], s[28:29], v[124:125]
	v_mul_f64 v[132:133], v[126:127], s[22:23]
	v_add_f64 v[104:105], v[134:135], v[104:105]
	v_fma_f64 v[134:135], s[20:21], v[92:93], v[132:133]
	v_add_f64 v[106:107], v[134:135], v[106:107]
	v_mul_f64 v[134:135], v[94:95], s[20:21]
	v_fma_f64 v[132:133], v[92:93], s[20:21], -v[132:133]
	v_add_f64 v[102:103], v[136:137], v[102:103]
	v_fma_f64 v[136:137], s[18:19], v[124:125], v[134:135]
	v_add_f64 v[108:109], v[132:133], v[108:109]
	v_fmac_f64_e32 v[134:135], s[22:23], v[124:125]
	v_mul_f64 v[132:133], v[126:127], s[10:11]
	v_add_f64 v[112:113], v[134:135], v[112:113]
	v_fma_f64 v[134:135], s[14:15], v[92:93], v[132:133]
	v_fma_f64 v[132:133], v[92:93], s[14:15], -v[132:133]
	v_mul_f64 v[126:127], v[126:127], s[30:31]
	v_add_f64 v[114:115], v[134:135], v[114:115]
	v_mul_f64 v[134:135], v[94:95], s[14:15]
	v_add_f64 v[116:117], v[132:133], v[116:117]
	v_fma_f64 v[132:133], s[34:35], v[92:93], v[126:127]
	v_mul_f64 v[94:95], v[94:95], s[34:35]
	v_add_f64 v[120:121], v[132:133], v[120:121]
	v_fma_f64 v[132:133], s[36:37], v[124:125], v[94:95]
	v_fma_f64 v[92:93], v[92:93], s[34:35], -v[126:127]
	v_add_f64 v[126:127], v[212:213], -v[216:217]
	v_add_f64 v[110:111], v[136:137], v[110:111]
	v_fma_f64 v[136:137], s[16:17], v[124:125], v[134:135]
	v_fmac_f64_e32 v[134:135], s[10:11], v[124:125]
	v_add_f64 v[122:123], v[132:133], v[122:123]
	v_add_f64 v[30:31], v[92:93], v[30:31]
	v_fmac_f64_e32 v[94:95], s[30:31], v[124:125]
	v_add_f64 v[92:93], v[210:211], v[214:215]
	v_mul_f64 v[132:133], v[126:127], s[24:25]
	v_add_f64 v[118:119], v[134:135], v[118:119]
	v_add_f64 v[34:35], v[94:95], v[34:35]
	v_add_f64 v[94:95], v[212:213], v[216:217]
	v_fma_f64 v[134:135], s[26:27], v[92:93], v[132:133]
	v_add_f64 v[124:125], v[210:211], -v[214:215]
	v_add_f64 v[28:29], v[134:135], v[28:29]
	v_mul_f64 v[134:135], v[94:95], s[26:27]
	v_fma_f64 v[132:133], v[92:93], s[26:27], -v[132:133]
	v_add_f64 v[32:33], v[136:137], v[32:33]
	v_fma_f64 v[136:137], s[28:29], v[124:125], v[134:135]
	v_add_f64 v[36:37], v[132:133], v[36:37]
	v_fmac_f64_e32 v[134:135], s[24:25], v[124:125]
	v_mul_f64 v[132:133], v[126:127], s[36:37]
	v_add_f64 v[76:77], v[134:135], v[76:77]
	v_fma_f64 v[134:135], s[34:35], v[92:93], v[132:133]
	v_add_f64 v[78:79], v[134:135], v[78:79]
	v_mul_f64 v[134:135], v[94:95], s[34:35]
	v_fma_f64 v[132:133], v[92:93], s[34:35], -v[132:133]
	v_add_f64 v[38:39], v[136:137], v[38:39]
	v_fma_f64 v[136:137], s[30:31], v[124:125], v[134:135]
	v_add_f64 v[80:81], v[132:133], v[80:81]
	v_fmac_f64_e32 v[134:135], s[36:37], v[124:125]
	v_mul_f64 v[132:133], v[126:127], s[22:23]
	v_add_f64 v[96:97], v[134:135], v[96:97]
	v_fma_f64 v[134:135], s[20:21], v[92:93], v[132:133]
	v_add_f64 v[98:99], v[134:135], v[98:99]
	v_mul_f64 v[134:135], v[94:95], s[20:21]
	v_fma_f64 v[132:133], v[92:93], s[20:21], -v[132:133]
	v_add_f64 v[82:83], v[136:137], v[82:83]
	v_fma_f64 v[136:137], s[18:19], v[124:125], v[134:135]
	v_add_f64 v[100:101], v[132:133], v[100:101]
	v_fmac_f64_e32 v[134:135], s[22:23], v[124:125]
	v_mul_f64 v[132:133], v[126:127], s[0:1]
	v_add_f64 v[104:105], v[134:135], v[104:105]
	v_fma_f64 v[134:135], s[2:3], v[92:93], v[132:133]
	v_add_f64 v[106:107], v[134:135], v[106:107]
	v_mul_f64 v[134:135], v[94:95], s[2:3]
	v_fma_f64 v[132:133], v[92:93], s[2:3], -v[132:133]
	v_add_f64 v[102:103], v[136:137], v[102:103]
	v_fma_f64 v[136:137], s[8:9], v[124:125], v[134:135]
	v_add_f64 v[108:109], v[132:133], v[108:109]
	v_fmac_f64_e32 v[134:135], s[0:1], v[124:125]
	v_mul_f64 v[132:133], v[126:127], s[42:43]
	v_add_f64 v[112:113], v[134:135], v[112:113]
	v_fma_f64 v[134:135], s[40:41], v[92:93], v[132:133]
	v_fma_f64 v[132:133], v[92:93], s[40:41], -v[132:133]
	v_mul_f64 v[126:127], v[126:127], s[16:17]
	v_add_f64 v[114:115], v[134:135], v[114:115]
	v_mul_f64 v[134:135], v[94:95], s[40:41]
	v_add_f64 v[116:117], v[132:133], v[116:117]
	v_fma_f64 v[132:133], s[14:15], v[92:93], v[126:127]
	v_mul_f64 v[94:95], v[94:95], s[14:15]
	v_add_f64 v[120:121], v[132:133], v[120:121]
	v_fma_f64 v[132:133], s[10:11], v[124:125], v[94:95]
	v_fma_f64 v[92:93], v[92:93], s[14:15], -v[126:127]
	v_add_f64 v[126:127], v[200:201], -v[208:209]
	v_add_f64 v[110:111], v[136:137], v[110:111]
	v_fma_f64 v[136:137], s[38:39], v[124:125], v[134:135]
	v_fmac_f64_e32 v[134:135], s[42:43], v[124:125]
	v_add_f64 v[122:123], v[132:133], v[122:123]
	v_add_f64 v[30:31], v[92:93], v[30:31]
	v_fmac_f64_e32 v[94:95], s[16:17], v[124:125]
	v_add_f64 v[92:93], v[198:199], v[202:203]
	v_mul_f64 v[132:133], v[126:127], s[30:31]
	v_add_f64 v[118:119], v[134:135], v[118:119]
	v_add_f64 v[34:35], v[94:95], v[34:35]
	v_add_f64 v[94:95], v[200:201], v[208:209]
	v_fma_f64 v[134:135], s[34:35], v[92:93], v[132:133]
	v_add_f64 v[124:125], v[198:199], -v[202:203]
	v_add_f64 v[28:29], v[134:135], v[28:29]
	v_mul_f64 v[134:135], v[94:95], s[34:35]
	v_fma_f64 v[132:133], v[92:93], s[34:35], -v[132:133]
	v_add_f64 v[32:33], v[136:137], v[32:33]
	v_fma_f64 v[136:137], s[36:37], v[124:125], v[134:135]
	v_add_f64 v[36:37], v[132:133], v[36:37]
	v_fmac_f64_e32 v[134:135], s[30:31], v[124:125]
	v_mul_f64 v[132:133], v[126:127], s[8:9]
	v_add_f64 v[76:77], v[134:135], v[76:77]
	v_fma_f64 v[134:135], s[2:3], v[92:93], v[132:133]
	v_add_f64 v[78:79], v[134:135], v[78:79]
	v_mul_f64 v[134:135], v[94:95], s[2:3]
	v_add_f64 v[38:39], v[136:137], v[38:39]
	v_fma_f64 v[136:137], s[0:1], v[124:125], v[134:135]
	v_fma_f64 v[132:133], v[92:93], s[2:3], -v[132:133]
	v_fmac_f64_e32 v[134:135], s[8:9], v[124:125]
	v_add_f64 v[80:81], v[132:133], v[80:81]
	v_add_f64 v[132:133], v[134:135], v[96:97]
	v_mul_f64 v[96:97], v[126:127], s[10:11]
	v_fma_f64 v[134:135], s[14:15], v[92:93], v[96:97]
	v_add_f64 v[134:135], v[134:135], v[98:99]
	v_mul_f64 v[98:99], v[94:95], s[14:15]
	v_fma_f64 v[96:97], v[92:93], s[14:15], -v[96:97]
	v_add_f64 v[82:83], v[136:137], v[82:83]
	v_fma_f64 v[136:137], s[16:17], v[124:125], v[98:99]
	v_add_f64 v[138:139], v[96:97], v[100:101]
	v_fmac_f64_e32 v[98:99], s[10:11], v[124:125]
	v_mul_f64 v[96:97], v[126:127], s[42:43]
	v_add_f64 v[140:141], v[98:99], v[104:105]
	v_fma_f64 v[98:99], s[40:41], v[92:93], v[96:97]
	v_add_f64 v[142:143], v[98:99], v[106:107]
	v_mul_f64 v[98:99], v[94:95], s[40:41]
	v_fma_f64 v[96:97], v[92:93], s[40:41], -v[96:97]
	v_fma_f64 v[100:101], s[38:39], v[124:125], v[98:99]
	v_add_f64 v[198:199], v[96:97], v[108:109]
	v_fmac_f64_e32 v[98:99], s[42:43], v[124:125]
	v_mul_f64 v[96:97], v[126:127], s[22:23]
	v_add_f64 v[200:201], v[98:99], v[112:113]
	v_fma_f64 v[98:99], s[20:21], v[92:93], v[96:97]
	v_add_f64 v[202:203], v[98:99], v[114:115]
	v_mul_f64 v[98:99], v[94:95], s[20:21]
	v_fma_f64 v[96:97], v[92:93], s[20:21], -v[96:97]
	v_add_f64 v[170:171], v[100:101], v[110:111]
	v_fma_f64 v[100:101], s[18:19], v[124:125], v[98:99]
	v_add_f64 v[208:209], v[96:97], v[116:117]
	v_fmac_f64_e32 v[98:99], s[22:23], v[124:125]
	v_mul_f64 v[96:97], v[126:127], s[24:25]
	v_add_f64 v[210:211], v[98:99], v[118:119]
	v_fma_f64 v[98:99], s[26:27], v[92:93], v[96:97]
	v_mul_f64 v[94:95], v[94:95], s[26:27]
	v_fma_f64 v[92:93], v[92:93], s[26:27], -v[96:97]
	v_add_f64 v[218:219], v[130:131], v[196:197]
	v_add_f64 v[196:197], v[130:131], -v[196:197]
	v_add_f64 v[212:213], v[98:99], v[120:121]
	v_fma_f64 v[98:99], s[28:29], v[124:125], v[94:95]
	v_add_f64 v[30:31], v[92:93], v[30:31]
	v_fmac_f64_e32 v[94:95], s[24:25], v[124:125]
	v_add_f64 v[216:217], v[128:129], v[194:195]
	v_mul_f64 v[92:93], v[196:197], s[38:39]
	v_add_f64 v[34:35], v[94:95], v[34:35]
	v_fma_f64 v[94:95], s[40:41], v[216:217], v[92:93]
	v_add_f64 v[32:33], v[100:101], v[32:33]
	v_add_f64 v[194:195], v[128:129], -v[194:195]
	v_add_f64 v[100:101], v[94:95], v[28:29]
	v_mul_f64 v[28:29], v[218:219], s[40:41]
	v_fma_f64 v[94:95], s[42:43], v[194:195], v[28:29]
	v_fmac_f64_e32 v[28:29], s[38:39], v[194:195]
	v_add_f64 v[136:137], v[136:137], v[102:103]
	v_add_f64 v[102:103], v[94:95], v[38:39]
	v_fma_f64 v[38:39], v[216:217], s[40:41], -v[92:93]
	v_add_f64 v[94:95], v[28:29], v[76:77]
	v_mul_f64 v[28:29], v[196:197], s[22:23]
	v_add_f64 v[92:93], v[38:39], v[36:37]
	v_fma_f64 v[36:37], s[20:21], v[216:217], v[28:29]
	v_add_f64 v[108:109], v[36:37], v[78:79]
	v_mul_f64 v[36:37], v[218:219], s[20:21]
	v_fma_f64 v[28:29], v[216:217], s[20:21], -v[28:29]
	v_fma_f64 v[38:39], s[18:19], v[194:195], v[36:37]
	v_add_f64 v[96:97], v[28:29], v[80:81]
	v_fmac_f64_e32 v[36:37], s[22:23], v[194:195]
	v_mul_f64 v[28:29], v[196:197], s[30:31]
	v_add_f64 v[214:215], v[98:99], v[122:123]
	v_add_f64 v[98:99], v[36:37], v[132:133]
	v_fma_f64 v[36:37], s[34:35], v[216:217], v[28:29]
	v_add_f64 v[116:117], v[36:37], v[134:135]
	v_mul_f64 v[36:37], v[218:219], s[34:35]
	v_fma_f64 v[28:29], v[216:217], s[34:35], -v[28:29]
	v_add_f64 v[110:111], v[38:39], v[82:83]
	v_fma_f64 v[38:39], s[36:37], v[194:195], v[36:37]
	v_add_f64 v[104:105], v[28:29], v[138:139]
	v_fmac_f64_e32 v[36:37], s[30:31], v[194:195]
	v_mul_f64 v[28:29], v[196:197], s[16:17]
	v_add_f64 v[106:107], v[36:37], v[140:141]
	v_fma_f64 v[36:37], s[14:15], v[216:217], v[28:29]
	v_add_f64 v[120:121], v[36:37], v[142:143]
	v_mul_f64 v[36:37], v[218:219], s[14:15]
	v_fma_f64 v[28:29], v[216:217], s[14:15], -v[28:29]
	v_add_f64 v[118:119], v[38:39], v[136:137]
	v_fma_f64 v[38:39], s[10:11], v[194:195], v[36:37]
	v_add_f64 v[112:113], v[28:29], v[198:199]
	v_fmac_f64_e32 v[36:37], s[16:17], v[194:195]
	v_mul_f64 v[28:29], v[196:197], s[24:25]
	v_add_f64 v[114:115], v[36:37], v[200:201]
	v_fma_f64 v[36:37], s[26:27], v[216:217], v[28:29]
	v_add_f64 v[128:129], v[36:37], v[202:203]
	v_mul_f64 v[36:37], v[218:219], s[26:27]
	v_fma_f64 v[28:29], v[216:217], s[26:27], -v[28:29]
	v_add_f64 v[122:123], v[38:39], v[170:171]
	v_fma_f64 v[38:39], s[28:29], v[194:195], v[36:37]
	v_add_f64 v[124:125], v[28:29], v[208:209]
	v_mul_f64 v[28:29], v[196:197], s[8:9]
	v_add_f64 v[130:131], v[38:39], v[32:33]
	v_fma_f64 v[32:33], s[2:3], v[216:217], v[28:29]
	v_fma_f64 v[28:29], v[216:217], s[2:3], -v[28:29]
	v_add_f64 v[140:141], v[28:29], v[30:31]
	v_add_f64 v[30:31], v[86:87], v[192:193]
	;; [unrolled: 1-line block ×18, first 2 shown]
	v_fmac_f64_e32 v[36:37], s[24:25], v[194:195]
	v_add_f64 v[132:133], v[32:33], v[212:213]
	v_mul_f64 v[32:33], v[218:219], s[2:3]
	v_add_f64 v[28:29], v[28:29], v[158:159]
	v_add_f64 v[30:31], v[30:31], v[160:161]
	;; [unrolled: 1-line block ×3, first 2 shown]
	v_fma_f64 v[36:37], s[0:1], v[194:195], v[32:33]
	v_fmac_f64_e32 v[32:33], s[8:9], v[194:195]
	v_add_f64 v[28:29], v[28:29], v[150:151]
	v_add_f64 v[30:31], v[30:31], v[164:165]
	;; [unrolled: 1-line block ×6, first 2 shown]
	v_add_f64 v[34:35], v[192:193], -v[168:169]
	v_add_f64 v[134:135], v[36:37], v[214:215]
	v_add_f64 v[136:137], v[28:29], v[166:167]
	;; [unrolled: 1-line block ×3, first 2 shown]
	v_add_f64 v[32:33], v[190:191], -v[166:167]
	v_mul_f64 v[36:37], v[34:35], s[18:19]
	v_mul_f64 v[76:77], v[30:31], s[20:21]
	v_mul_f64 v[80:81], v[34:35], s[10:11]
	v_mul_f64 v[166:167], v[30:31], s[14:15]
	v_mul_f64 v[170:171], v[34:35], s[0:1]
	v_mul_f64 v[192:193], v[30:31], s[2:3]
	v_mul_f64 v[196:197], v[34:35], s[24:25]
	v_mul_f64 v[200:201], v[30:31], s[26:27]
	v_mul_f64 v[208:209], v[34:35], s[30:31]
	v_mul_f64 v[212:213], v[30:31], s[34:35]
	v_mul_f64 v[34:35], v[34:35], s[38:39]
	v_mul_f64 v[30:31], v[30:31], s[40:41]
	v_fma_f64 v[38:39], s[20:21], v[28:29], v[36:37]
	v_fma_f64 v[78:79], s[22:23], v[32:33], v[76:77]
	v_fma_f64 v[36:37], v[28:29], s[20:21], -v[36:37]
	v_fmac_f64_e32 v[76:77], s[18:19], v[32:33]
	v_fma_f64 v[82:83], s[14:15], v[28:29], v[80:81]
	v_fma_f64 v[168:169], s[16:17], v[32:33], v[166:167]
	v_fma_f64 v[80:81], v[28:29], s[14:15], -v[80:81]
	v_fmac_f64_e32 v[166:167], s[10:11], v[32:33]
	v_fma_f64 v[190:191], s[2:3], v[28:29], v[170:171]
	v_fma_f64 v[194:195], s[8:9], v[32:33], v[192:193]
	v_fma_f64 v[170:171], v[28:29], s[2:3], -v[170:171]
	v_fmac_f64_e32 v[192:193], s[0:1], v[32:33]
	v_fma_f64 v[198:199], s[26:27], v[28:29], v[196:197]
	v_fma_f64 v[202:203], s[28:29], v[32:33], v[200:201]
	v_fma_f64 v[196:197], v[28:29], s[26:27], -v[196:197]
	v_fmac_f64_e32 v[200:201], s[24:25], v[32:33]
	v_fma_f64 v[210:211], s[34:35], v[28:29], v[208:209]
	v_fma_f64 v[208:209], v[28:29], s[34:35], -v[208:209]
	v_fma_f64 v[214:215], s[40:41], v[28:29], v[34:35]
	v_fma_f64 v[28:29], v[28:29], s[40:41], -v[34:35]
	v_fma_f64 v[34:35], s[36:37], v[32:33], v[212:213]
	v_fmac_f64_e32 v[212:213], s[30:31], v[32:33]
	v_fma_f64 v[216:217], s[42:43], v[32:33], v[30:31]
	v_fmac_f64_e32 v[30:31], s[38:39], v[32:33]
	v_add_f64 v[32:33], v[84:85], v[38:39]
	v_add_f64 v[38:39], v[86:87], v[78:79]
	;; [unrolled: 1-line block ×19, first 2 shown]
	v_add_f64 v[164:165], v[184:185], -v[164:165]
	v_add_f64 v[36:37], v[84:85], v[36:37]
	v_add_f64 v[80:81], v[84:85], v[80:81]
	v_add_f64 v[170:171], v[84:85], v[170:171]
	v_add_f64 v[196:197], v[84:85], v[196:197]
	v_add_f64 v[208:209], v[84:85], v[208:209]
	v_add_f64 v[28:29], v[84:85], v[28:29]
	v_add_f64 v[84:85], v[182:183], v[162:163]
	v_add_f64 v[162:163], v[182:183], -v[162:163]
	v_mul_f64 v[182:183], v[164:165], s[10:11]
	v_fma_f64 v[184:185], s[14:15], v[84:85], v[182:183]
	v_add_f64 v[32:33], v[184:185], v[32:33]
	v_mul_f64 v[184:185], v[86:87], s[14:15]
	v_fma_f64 v[182:183], v[84:85], s[14:15], -v[182:183]
	v_fma_f64 v[216:217], s[16:17], v[162:163], v[184:185]
	v_add_f64 v[36:37], v[182:183], v[36:37]
	v_fmac_f64_e32 v[184:185], s[10:11], v[162:163]
	v_mul_f64 v[182:183], v[164:165], s[24:25]
	v_add_f64 v[76:77], v[184:185], v[76:77]
	v_fma_f64 v[184:185], s[26:27], v[84:85], v[182:183]
	v_add_f64 v[78:79], v[184:185], v[78:79]
	v_mul_f64 v[184:185], v[86:87], s[26:27]
	v_fma_f64 v[182:183], v[84:85], s[26:27], -v[182:183]
	v_add_f64 v[38:39], v[216:217], v[38:39]
	v_fma_f64 v[216:217], s[28:29], v[162:163], v[184:185]
	v_add_f64 v[80:81], v[182:183], v[80:81]
	v_fmac_f64_e32 v[184:185], s[24:25], v[162:163]
	v_mul_f64 v[182:183], v[164:165], s[38:39]
	v_add_f64 v[166:167], v[184:185], v[166:167]
	v_fma_f64 v[184:185], s[40:41], v[84:85], v[182:183]
	v_add_f64 v[168:169], v[184:185], v[168:169]
	v_mul_f64 v[184:185], v[86:87], s[40:41]
	v_add_f64 v[82:83], v[216:217], v[82:83]
	v_fma_f64 v[216:217], s[42:43], v[162:163], v[184:185]
	v_fma_f64 v[182:183], v[84:85], s[40:41], -v[182:183]
	v_fmac_f64_e32 v[184:185], s[38:39], v[162:163]
	v_add_f64 v[170:171], v[182:183], v[170:171]
	v_add_f64 v[182:183], v[184:185], v[192:193]
	v_mul_f64 v[184:185], v[164:165], s[36:37]
	v_fma_f64 v[192:193], s[34:35], v[84:85], v[184:185]
	v_add_f64 v[192:193], v[192:193], v[194:195]
	v_mul_f64 v[194:195], v[86:87], s[34:35]
	v_fma_f64 v[184:185], v[84:85], s[34:35], -v[184:185]
	v_add_f64 v[190:191], v[216:217], v[190:191]
	v_fma_f64 v[216:217], s[30:31], v[162:163], v[194:195]
	v_add_f64 v[184:185], v[184:185], v[196:197]
	v_fmac_f64_e32 v[194:195], s[36:37], v[162:163]
	v_mul_f64 v[196:197], v[164:165], s[8:9]
	v_add_f64 v[194:195], v[194:195], v[200:201]
	v_fma_f64 v[200:201], s[2:3], v[84:85], v[196:197]
	v_add_f64 v[200:201], v[200:201], v[202:203]
	v_mul_f64 v[202:203], v[86:87], s[2:3]
	v_add_f64 v[198:199], v[216:217], v[198:199]
	v_fma_f64 v[216:217], s[0:1], v[162:163], v[202:203]
	v_fmac_f64_e32 v[202:203], s[8:9], v[162:163]
	v_mul_f64 v[86:87], v[86:87], s[20:21]
	v_fma_f64 v[196:197], v[84:85], s[2:3], -v[196:197]
	v_add_f64 v[202:203], v[202:203], v[210:211]
	v_mul_f64 v[164:165], v[164:165], s[22:23]
	v_fma_f64 v[210:211], s[18:19], v[162:163], v[86:87]
	v_fmac_f64_e32 v[86:87], s[22:23], v[162:163]
	v_add_f64 v[196:197], v[196:197], v[208:209]
	v_fma_f64 v[208:209], s[20:21], v[84:85], v[164:165]
	v_fma_f64 v[84:85], v[84:85], s[20:21], -v[164:165]
	v_add_f64 v[30:31], v[86:87], v[30:31]
	v_add_f64 v[86:87], v[188:189], v[160:161]
	v_add_f64 v[160:161], v[188:189], -v[160:161]
	v_add_f64 v[28:29], v[84:85], v[28:29]
	v_add_f64 v[84:85], v[186:187], v[150:151]
	v_mul_f64 v[162:163], v[160:161], s[0:1]
	v_fma_f64 v[164:165], s[2:3], v[84:85], v[162:163]
	v_add_f64 v[150:151], v[186:187], -v[150:151]
	v_add_f64 v[32:33], v[164:165], v[32:33]
	v_mul_f64 v[164:165], v[86:87], s[2:3]
	v_fma_f64 v[162:163], v[84:85], s[2:3], -v[162:163]
	v_fma_f64 v[186:187], s[8:9], v[150:151], v[164:165]
	v_add_f64 v[36:37], v[162:163], v[36:37]
	v_fmac_f64_e32 v[164:165], s[0:1], v[150:151]
	v_mul_f64 v[162:163], v[160:161], s[38:39]
	v_add_f64 v[76:77], v[164:165], v[76:77]
	v_fma_f64 v[164:165], s[40:41], v[84:85], v[162:163]
	v_add_f64 v[78:79], v[164:165], v[78:79]
	v_mul_f64 v[164:165], v[86:87], s[40:41]
	v_add_f64 v[38:39], v[186:187], v[38:39]
	v_fma_f64 v[186:187], s[42:43], v[150:151], v[164:165]
	v_fma_f64 v[162:163], v[84:85], s[40:41], -v[162:163]
	v_fmac_f64_e32 v[164:165], s[38:39], v[150:151]
	v_add_f64 v[80:81], v[162:163], v[80:81]
	v_add_f64 v[162:163], v[164:165], v[166:167]
	v_mul_f64 v[164:165], v[160:161], s[28:29]
	v_fma_f64 v[166:167], s[26:27], v[84:85], v[164:165]
	v_add_f64 v[166:167], v[166:167], v[168:169]
	v_mul_f64 v[168:169], v[86:87], s[26:27]
	v_fma_f64 v[164:165], v[84:85], s[26:27], -v[164:165]
	v_add_f64 v[82:83], v[186:187], v[82:83]
	v_fma_f64 v[186:187], s[24:25], v[150:151], v[168:169]
	v_add_f64 v[164:165], v[164:165], v[170:171]
	v_fmac_f64_e32 v[168:169], s[28:29], v[150:151]
	v_mul_f64 v[170:171], v[160:161], s[22:23]
	v_mul_f64 v[188:189], v[86:87], s[20:21]
	v_add_f64 v[186:187], v[186:187], v[190:191]
	v_add_f64 v[168:169], v[168:169], v[182:183]
	v_fma_f64 v[182:183], s[20:21], v[84:85], v[170:171]
	v_fma_f64 v[190:191], s[18:19], v[150:151], v[188:189]
	v_fma_f64 v[170:171], v[84:85], s[20:21], -v[170:171]
	v_fmac_f64_e32 v[188:189], s[22:23], v[150:151]
	v_add_f64 v[170:171], v[170:171], v[184:185]
	v_add_f64 v[184:185], v[188:189], v[194:195]
	v_mul_f64 v[194:195], v[86:87], s[14:15]
	v_add_f64 v[34:35], v[216:217], v[34:35]
	v_add_f64 v[190:191], v[190:191], v[198:199]
	v_mul_f64 v[188:189], v[160:161], s[10:11]
	v_fma_f64 v[198:199], s[16:17], v[150:151], v[194:195]
	v_mul_f64 v[86:87], v[86:87], s[34:35]
	v_add_f64 v[182:183], v[182:183], v[192:193]
	v_fma_f64 v[192:193], s[14:15], v[84:85], v[188:189]
	v_add_f64 v[34:35], v[198:199], v[34:35]
	v_fma_f64 v[188:189], v[84:85], s[14:15], -v[188:189]
	v_mul_f64 v[160:161], v[160:161], s[30:31]
	v_fma_f64 v[198:199], s[36:37], v[150:151], v[86:87]
	v_fmac_f64_e32 v[86:87], s[30:31], v[150:151]
	v_add_f64 v[188:189], v[188:189], v[196:197]
	v_fma_f64 v[196:197], s[34:35], v[84:85], v[160:161]
	v_fma_f64 v[84:85], v[84:85], s[34:35], -v[160:161]
	v_add_f64 v[30:31], v[86:87], v[30:31]
	v_add_f64 v[86:87], v[180:181], v[148:149]
	v_add_f64 v[148:149], v[180:181], -v[148:149]
	v_fmac_f64_e32 v[194:195], s[10:11], v[150:151]
	v_add_f64 v[28:29], v[84:85], v[28:29]
	v_add_f64 v[84:85], v[178:179], v[158:159]
	v_add_f64 v[150:151], v[178:179], -v[158:159]
	v_mul_f64 v[158:159], v[148:149], s[24:25]
	v_fma_f64 v[160:161], s[26:27], v[84:85], v[158:159]
	v_add_f64 v[32:33], v[160:161], v[32:33]
	v_mul_f64 v[160:161], v[86:87], s[26:27]
	v_fma_f64 v[158:159], v[84:85], s[26:27], -v[158:159]
	v_fma_f64 v[178:179], s[28:29], v[150:151], v[160:161]
	v_add_f64 v[36:37], v[158:159], v[36:37]
	v_fmac_f64_e32 v[160:161], s[24:25], v[150:151]
	v_mul_f64 v[158:159], v[148:149], s[36:37]
	v_add_f64 v[76:77], v[160:161], v[76:77]
	v_fma_f64 v[160:161], s[34:35], v[84:85], v[158:159]
	v_add_f64 v[78:79], v[160:161], v[78:79]
	v_mul_f64 v[160:161], v[86:87], s[34:35]
	v_add_f64 v[38:39], v[178:179], v[38:39]
	v_fma_f64 v[178:179], s[30:31], v[150:151], v[160:161]
	v_fma_f64 v[158:159], v[84:85], s[34:35], -v[158:159]
	v_fmac_f64_e32 v[160:161], s[36:37], v[150:151]
	v_add_f64 v[80:81], v[158:159], v[80:81]
	v_add_f64 v[158:159], v[160:161], v[162:163]
	v_mul_f64 v[160:161], v[148:149], s[22:23]
	v_fma_f64 v[162:163], s[20:21], v[84:85], v[160:161]
	v_add_f64 v[162:163], v[162:163], v[166:167]
	v_mul_f64 v[166:167], v[86:87], s[20:21]
	v_add_f64 v[82:83], v[178:179], v[82:83]
	v_fma_f64 v[178:179], s[18:19], v[150:151], v[166:167]
	v_fma_f64 v[160:161], v[84:85], s[20:21], -v[160:161]
	v_fmac_f64_e32 v[166:167], s[22:23], v[150:151]
	v_add_f64 v[160:161], v[160:161], v[164:165]
	v_add_f64 v[164:165], v[166:167], v[168:169]
	v_mul_f64 v[166:167], v[148:149], s[0:1]
	v_fma_f64 v[168:169], s[2:3], v[84:85], v[166:167]
	v_mul_f64 v[180:181], v[86:87], s[2:3]
	v_add_f64 v[168:169], v[168:169], v[182:183]
	v_fma_f64 v[182:183], s[8:9], v[150:151], v[180:181]
	v_fma_f64 v[166:167], v[84:85], s[2:3], -v[166:167]
	v_fmac_f64_e32 v[180:181], s[0:1], v[150:151]
	v_add_f64 v[178:179], v[178:179], v[186:187]
	v_add_f64 v[166:167], v[166:167], v[170:171]
	;; [unrolled: 1-line block ×3, first 2 shown]
	v_mul_f64 v[180:181], v[148:149], s[42:43]
	v_mul_f64 v[186:187], v[86:87], s[40:41]
	v_add_f64 v[182:183], v[182:183], v[190:191]
	v_fma_f64 v[184:185], s[40:41], v[84:85], v[180:181]
	v_fma_f64 v[190:191], s[38:39], v[150:151], v[186:187]
	v_fma_f64 v[180:181], v[84:85], s[40:41], -v[180:181]
	v_mul_f64 v[148:149], v[148:149], s[16:17]
	v_mul_f64 v[86:87], v[86:87], s[14:15]
	v_add_f64 v[34:35], v[190:191], v[34:35]
	v_add_f64 v[180:181], v[180:181], v[188:189]
	v_fmac_f64_e32 v[186:187], s[42:43], v[150:151]
	v_fma_f64 v[188:189], s[14:15], v[84:85], v[148:149]
	v_fma_f64 v[190:191], s[10:11], v[150:151], v[86:87]
	v_fma_f64 v[84:85], v[84:85], s[14:15], -v[148:149]
	v_fmac_f64_e32 v[86:87], s[16:17], v[150:151]
	v_add_f64 v[150:151], v[176:177], -v[156:157]
	v_add_f64 v[28:29], v[84:85], v[28:29]
	v_add_f64 v[84:85], v[174:175], v[154:155]
	v_add_f64 v[148:149], v[174:175], -v[154:155]
	v_mul_f64 v[154:155], v[150:151], s[30:31]
	v_add_f64 v[30:31], v[86:87], v[30:31]
	v_add_f64 v[86:87], v[176:177], v[156:157]
	v_fma_f64 v[156:157], s[34:35], v[84:85], v[154:155]
	v_add_f64 v[32:33], v[156:157], v[32:33]
	v_mul_f64 v[156:157], v[86:87], s[34:35]
	v_fma_f64 v[154:155], v[84:85], s[34:35], -v[154:155]
	v_fma_f64 v[174:175], s[36:37], v[148:149], v[156:157]
	v_add_f64 v[36:37], v[154:155], v[36:37]
	v_fmac_f64_e32 v[156:157], s[30:31], v[148:149]
	v_mul_f64 v[154:155], v[150:151], s[8:9]
	v_add_f64 v[76:77], v[156:157], v[76:77]
	v_fma_f64 v[156:157], s[2:3], v[84:85], v[154:155]
	v_add_f64 v[78:79], v[156:157], v[78:79]
	v_mul_f64 v[156:157], v[86:87], s[2:3]
	v_add_f64 v[38:39], v[174:175], v[38:39]
	v_fma_f64 v[174:175], s[0:1], v[148:149], v[156:157]
	v_fma_f64 v[154:155], v[84:85], s[2:3], -v[154:155]
	v_fmac_f64_e32 v[156:157], s[8:9], v[148:149]
	v_add_f64 v[80:81], v[154:155], v[80:81]
	v_add_f64 v[154:155], v[156:157], v[158:159]
	v_mul_f64 v[156:157], v[150:151], s[10:11]
	v_fma_f64 v[158:159], s[14:15], v[84:85], v[156:157]
	v_add_f64 v[158:159], v[158:159], v[162:163]
	v_mul_f64 v[162:163], v[86:87], s[14:15]
	v_add_f64 v[82:83], v[174:175], v[82:83]
	v_fma_f64 v[174:175], s[16:17], v[148:149], v[162:163]
	v_fma_f64 v[156:157], v[84:85], s[14:15], -v[156:157]
	v_fmac_f64_e32 v[162:163], s[10:11], v[148:149]
	v_add_f64 v[156:157], v[156:157], v[160:161]
	v_add_f64 v[160:161], v[162:163], v[164:165]
	v_mul_f64 v[162:163], v[150:151], s[42:43]
	v_fma_f64 v[164:165], s[40:41], v[84:85], v[162:163]
	v_add_f64 v[164:165], v[164:165], v[168:169]
	v_mul_f64 v[168:169], v[86:87], s[40:41]
	v_add_f64 v[174:175], v[174:175], v[178:179]
	v_fma_f64 v[176:177], s[38:39], v[148:149], v[168:169]
	v_fma_f64 v[162:163], v[84:85], s[40:41], -v[162:163]
	v_fmac_f64_e32 v[168:169], s[42:43], v[148:149]
	v_mul_f64 v[178:179], v[86:87], s[20:21]
	v_add_f64 v[176:177], v[176:177], v[182:183]
	v_add_f64 v[162:163], v[162:163], v[166:167]
	;; [unrolled: 1-line block ×3, first 2 shown]
	v_mul_f64 v[168:169], v[150:151], s[22:23]
	v_fma_f64 v[182:183], s[18:19], v[148:149], v[178:179]
	v_add_f64 v[208:209], v[208:209], v[212:213]
	v_add_f64 v[182:183], v[182:183], v[34:35]
	v_fma_f64 v[34:35], v[84:85], s[20:21], -v[168:169]
	v_add_f64 v[210:211], v[210:211], v[214:215]
	v_add_f64 v[196:197], v[196:197], v[208:209]
	v_fma_f64 v[170:171], s[20:21], v[84:85], v[168:169]
	v_add_f64 v[168:169], v[34:35], v[180:181]
	v_mul_f64 v[34:35], v[150:151], s[24:25]
	v_add_f64 v[192:193], v[192:193], v[200:201]
	v_add_f64 v[194:195], v[194:195], v[202:203]
	;; [unrolled: 1-line block ×4, first 2 shown]
	v_fma_f64 v[150:151], s[26:27], v[84:85], v[34:35]
	v_mul_f64 v[86:87], v[86:87], s[26:27]
	v_add_f64 v[184:185], v[184:185], v[192:193]
	v_add_f64 v[186:187], v[186:187], v[194:195]
	;; [unrolled: 1-line block ×3, first 2 shown]
	v_fmac_f64_e32 v[178:179], s[22:23], v[148:149]
	v_add_f64 v[180:181], v[150:151], v[188:189]
	v_fma_f64 v[150:151], s[28:29], v[148:149], v[86:87]
	v_fma_f64 v[34:35], v[84:85], s[26:27], -v[34:35]
	v_add_f64 v[192:193], v[146:147], v[152:153]
	v_add_f64 v[194:195], v[146:147], -v[152:153]
	v_add_f64 v[170:171], v[170:171], v[184:185]
	v_add_f64 v[178:179], v[178:179], v[186:187]
	;; [unrolled: 1-line block ×4, first 2 shown]
	v_fmac_f64_e32 v[86:87], s[24:25], v[148:149]
	v_add_f64 v[190:191], v[144:145], v[172:173]
	v_add_f64 v[172:173], v[144:145], -v[172:173]
	v_mul_f64 v[34:35], v[194:195], s[38:39]
	v_mul_f64 v[84:85], v[192:193], s[40:41]
	v_add_f64 v[188:189], v[86:87], v[30:31]
	v_fma_f64 v[28:29], s[40:41], v[190:191], v[34:35]
	v_fma_f64 v[30:31], s[42:43], v[172:173], v[84:85]
	v_fmac_f64_e32 v[84:85], s[38:39], v[172:173]
	v_add_f64 v[28:29], v[28:29], v[32:33]
	v_fma_f64 v[32:33], v[190:191], s[40:41], -v[34:35]
	v_add_f64 v[34:35], v[84:85], v[76:77]
	v_mul_f64 v[76:77], v[194:195], s[22:23]
	v_add_f64 v[32:33], v[32:33], v[36:37]
	v_fma_f64 v[36:37], s[20:21], v[190:191], v[76:77]
	v_add_f64 v[36:37], v[36:37], v[78:79]
	v_mul_f64 v[78:79], v[192:193], s[20:21]
	v_fma_f64 v[76:77], v[190:191], s[20:21], -v[76:77]
	v_mul_f64 v[84:85], v[194:195], s[30:31]
	v_mul_f64 v[148:149], v[194:195], s[16:17]
	;; [unrolled: 1-line block ×3, first 2 shown]
	v_add_f64 v[30:31], v[30:31], v[38:39]
	v_fma_f64 v[38:39], s[18:19], v[172:173], v[78:79]
	v_add_f64 v[76:77], v[76:77], v[80:81]
	v_fma_f64 v[80:81], s[34:35], v[190:191], v[84:85]
	v_mul_f64 v[86:87], v[192:193], s[34:35]
	v_fma_f64 v[84:85], v[190:191], s[34:35], -v[84:85]
	v_fma_f64 v[144:145], s[14:15], v[190:191], v[148:149]
	v_fma_f64 v[146:147], s[10:11], v[172:173], v[150:151]
	v_fmac_f64_e32 v[150:151], s[16:17], v[172:173]
	v_add_f64 v[38:39], v[38:39], v[82:83]
	v_fmac_f64_e32 v[78:79], s[22:23], v[172:173]
	v_add_f64 v[80:81], v[80:81], v[158:159]
	v_fma_f64 v[82:83], s[36:37], v[172:173], v[86:87]
	v_add_f64 v[84:85], v[84:85], v[156:157]
	v_fmac_f64_e32 v[86:87], s[30:31], v[172:173]
	v_add_f64 v[144:145], v[144:145], v[164:165]
	v_fma_f64 v[148:149], v[190:191], s[14:15], -v[148:149]
	v_add_f64 v[150:151], v[150:151], v[166:167]
	v_mul_f64 v[156:157], v[194:195], s[24:25]
	v_mul_f64 v[158:159], v[192:193], s[26:27]
	v_mul_f64 v[164:165], v[194:195], s[8:9]
	v_mul_f64 v[166:167], v[192:193], s[2:3]
	v_add_f64 v[78:79], v[78:79], v[154:155]
	v_add_f64 v[86:87], v[86:87], v[160:161]
	;; [unrolled: 1-line block ×3, first 2 shown]
	v_fma_f64 v[152:153], s[26:27], v[190:191], v[156:157]
	v_fma_f64 v[154:155], s[28:29], v[172:173], v[158:159]
	v_fma_f64 v[156:157], v[190:191], s[26:27], -v[156:157]
	v_fmac_f64_e32 v[158:159], s[24:25], v[172:173]
	v_fma_f64 v[160:161], s[2:3], v[190:191], v[164:165]
	v_fma_f64 v[162:163], s[0:1], v[172:173], v[166:167]
	v_fma_f64 v[164:165], v[190:191], s[2:3], -v[164:165]
	v_fmac_f64_e32 v[166:167], s[8:9], v[172:173]
	v_add_f64 v[82:83], v[82:83], v[174:175]
	v_add_f64 v[146:147], v[146:147], v[176:177]
	;; [unrolled: 1-line block ×10, first 2 shown]
	s_waitcnt lgkmcnt(0)
	; wave barrier
	ds_write_b128 v205, v[88:91]
	ds_write_b128 v205, v[100:103] offset:32
	ds_write_b128 v205, v[108:111] offset:64
	;; [unrolled: 1-line block ×12, first 2 shown]
	ds_write_b128 v240, v[136:139]
	ds_write_b128 v240, v[28:31] offset:32
	ds_write_b128 v240, v[36:39] offset:64
	;; [unrolled: 1-line block ×12, first 2 shown]
	v_accvgpr_read_b32 v104, a134
	v_accvgpr_read_b32 v106, a136
	v_accvgpr_read_b32 v107, a137
	s_waitcnt lgkmcnt(0)
	; wave barrier
	s_waitcnt lgkmcnt(0)
	ds_read_b128 v[92:95], v204
	ds_read_b128 v[88:91], v204 offset:832
	ds_read_b128 v[28:31], v204 offset:1664
	ds_read_b128 v[32:35], v204 offset:2496
	ds_read_b128 v[36:39], v204 offset:3328
	ds_read_b128 v[76:79], v204 offset:4160
	ds_read_b128 v[80:83], v204 offset:4992
	ds_read_b128 v[84:87], v204 offset:5824
	ds_read_b128 v[96:99], v204 offset:6656
	ds_read_b128 v[124:127], v204 offset:7488
	ds_read_b128 v[100:103], v204 offset:8320
	ds_read_b128 v[128:131], v204 offset:9152
	ds_read_b128 v[108:111], v204 offset:9984
	ds_read_b128 v[132:135], v204 offset:10816
	ds_read_b128 v[116:119], v204 offset:11648
	ds_read_b128 v[136:139], v204 offset:12480
	ds_read_b128 v[140:143], v204 offset:13312
	ds_read_b128 v[144:147], v204 offset:14144
	ds_read_b128 v[148:151], v204 offset:14976
	ds_read_b128 v[176:179], v204 offset:15808
	ds_read_b128 v[152:155], v204 offset:16640
	ds_read_b128 v[184:187], v204 offset:17472
	ds_read_b128 v[156:159], v204 offset:18304
	ds_read_b128 v[192:195], v204 offset:19136
	ds_read_b128 v[160:163], v204 offset:19968
	ds_read_b128 v[196:199], v204 offset:20800
	v_accvgpr_read_b32 v105, a135
	s_waitcnt lgkmcnt(14)
	v_mul_f64 v[200:201], v[106:107], v[30:31]
	v_fmac_f64_e32 v[200:201], v[104:105], v[28:29]
	v_mul_f64 v[28:29], v[106:107], v[28:29]
	v_fma_f64 v[28:29], v[104:105], v[30:31], -v[28:29]
	v_accvgpr_read_b32 v104, a118
	v_accvgpr_read_b32 v106, a120
	;; [unrolled: 1-line block ×4, first 2 shown]
	v_mul_f64 v[30:31], v[106:107], v[38:39]
	v_fmac_f64_e32 v[30:31], v[104:105], v[36:37]
	v_mul_f64 v[36:37], v[106:107], v[36:37]
	v_fma_f64 v[36:37], v[104:105], v[38:39], -v[36:37]
	v_accvgpr_read_b32 v104, a114
	v_accvgpr_read_b32 v106, a116
	v_accvgpr_read_b32 v107, a117
	v_accvgpr_read_b32 v105, a115
	v_mul_f64 v[120:121], v[106:107], v[82:83]
	v_mul_f64 v[38:39], v[106:107], v[80:81]
	v_fmac_f64_e32 v[120:121], v[104:105], v[80:81]
	v_fma_f64 v[122:123], v[104:105], v[82:83], -v[38:39]
	v_accvgpr_read_b32 v80, a110
	v_accvgpr_read_b32 v82, a112
	v_accvgpr_read_b32 v83, a113
	v_accvgpr_read_b32 v81, a111
	v_mul_f64 v[112:113], v[82:83], v[98:99]
	v_mul_f64 v[38:39], v[82:83], v[96:97]
	v_fmac_f64_e32 v[112:113], v[80:81], v[96:97]
	;; [unrolled: 8-line block ×3, first 2 shown]
	v_fma_f64 v[106:107], v[80:81], v[102:103], -v[38:39]
	v_accvgpr_read_b32 v80, a130
	v_accvgpr_read_b32 v82, a132
	v_accvgpr_read_b32 v83, a133
	v_accvgpr_read_b32 v81, a131
	s_waitcnt lgkmcnt(13)
	v_mul_f64 v[96:97], v[82:83], v[110:111]
	v_mul_f64 v[38:39], v[82:83], v[108:109]
	v_fmac_f64_e32 v[96:97], v[80:81], v[108:109]
	v_fma_f64 v[98:99], v[80:81], v[110:111], -v[38:39]
	v_accvgpr_read_b32 v80, a126
	v_accvgpr_read_b32 v82, a128
	v_accvgpr_read_b32 v83, a129
	v_accvgpr_read_b32 v81, a127
	s_waitcnt lgkmcnt(11)
	v_mul_f64 v[100:101], v[82:83], v[118:119]
	v_mul_f64 v[38:39], v[82:83], v[116:117]
	v_fmac_f64_e32 v[100:101], v[80:81], v[116:117]
	;; [unrolled: 9-line block ×3, first 2 shown]
	v_fma_f64 v[110:111], v[80:81], v[142:143], -v[38:39]
	v_accvgpr_read_b32 v80, a154
	v_accvgpr_read_b32 v82, a156
	;; [unrolled: 1-line block ×4, first 2 shown]
	s_waitcnt lgkmcnt(7)
	v_mul_f64 v[116:117], v[82:83], v[150:151]
	v_mul_f64 v[38:39], v[82:83], v[148:149]
	v_accvgpr_read_b32 v140, a150
	v_fmac_f64_e32 v[116:117], v[80:81], v[148:149]
	v_fma_f64 v[118:119], v[80:81], v[150:151], -v[38:39]
	v_accvgpr_read_b32 v142, a152
	v_accvgpr_read_b32 v143, a153
	;; [unrolled: 1-line block ×4, first 2 shown]
	s_waitcnt lgkmcnt(5)
	v_mul_f64 v[38:39], v[142:143], v[154:155]
	v_mul_f64 v[80:81], v[142:143], v[152:153]
	v_accvgpr_read_b32 v150, a148
	v_fmac_f64_e32 v[38:39], v[140:141], v[152:153]
	v_fma_f64 v[80:81], v[140:141], v[154:155], -v[80:81]
	s_waitcnt lgkmcnt(3)
	v_mul_f64 v[82:83], v[150:151], v[158:159]
	v_mul_f64 v[140:141], v[150:151], v[156:157]
	v_accvgpr_read_b32 v153, a145
	v_accvgpr_read_b32 v149, a147
	;; [unrolled: 1-line block ×4, first 2 shown]
	v_fmac_f64_e32 v[82:83], v[148:149], v[156:157]
	v_fma_f64 v[140:141], v[148:149], v[158:159], -v[140:141]
	v_accvgpr_read_b32 v151, a143
	v_accvgpr_read_b32 v150, a142
	s_waitcnt lgkmcnt(1)
	v_mul_f64 v[142:143], v[152:153], v[162:163]
	v_mul_f64 v[148:149], v[152:153], v[160:161]
	v_fmac_f64_e32 v[142:143], v[150:151], v[160:161]
	v_fma_f64 v[202:203], v[150:151], v[162:163], -v[148:149]
	v_accvgpr_read_b32 v148, a170
	v_accvgpr_read_b32 v150, a172
	v_accvgpr_read_b32 v151, a173
	v_accvgpr_read_b32 v149, a171
	v_mul_f64 v[188:189], v[150:151], v[34:35]
	v_fmac_f64_e32 v[188:189], v[148:149], v[32:33]
	v_mul_f64 v[32:33], v[150:151], v[32:33]
	v_fma_f64 v[190:191], v[148:149], v[34:35], -v[32:33]
	v_accvgpr_read_b32 v148, a166
	v_accvgpr_read_b32 v150, a168
	v_accvgpr_read_b32 v151, a169
	v_accvgpr_read_b32 v149, a167
	v_mul_f64 v[180:181], v[150:151], v[78:79]
	v_mul_f64 v[32:33], v[150:151], v[76:77]
	v_fmac_f64_e32 v[180:181], v[148:149], v[76:77]
	v_fma_f64 v[182:183], v[148:149], v[78:79], -v[32:33]
	v_accvgpr_read_b32 v76, a162
	v_accvgpr_read_b32 v78, a164
	v_accvgpr_read_b32 v79, a165
	v_accvgpr_read_b32 v77, a163
	v_mul_f64 v[172:173], v[78:79], v[86:87]
	v_mul_f64 v[32:33], v[78:79], v[84:85]
	v_fmac_f64_e32 v[172:173], v[76:77], v[84:85]
	v_fma_f64 v[174:175], v[76:77], v[86:87], -v[32:33]
	v_accvgpr_read_b32 v76, a158
	v_accvgpr_read_b32 v78, a160
	v_accvgpr_read_b32 v79, a161
	v_accvgpr_read_b32 v77, a159
	v_mul_f64 v[164:165], v[78:79], v[126:127]
	v_mul_f64 v[32:33], v[78:79], v[124:125]
	v_fmac_f64_e32 v[164:165], v[76:77], v[124:125]
	v_fma_f64 v[166:167], v[76:77], v[126:127], -v[32:33]
	v_accvgpr_read_b32 v76, a186
	v_accvgpr_read_b32 v78, a188
	v_accvgpr_read_b32 v79, a189
	v_accvgpr_read_b32 v77, a187
	v_mul_f64 v[156:157], v[78:79], v[130:131]
	v_mul_f64 v[32:33], v[78:79], v[128:129]
	v_fmac_f64_e32 v[156:157], v[76:77], v[128:129]
	v_fma_f64 v[158:159], v[76:77], v[130:131], -v[32:33]
	v_accvgpr_read_b32 v76, a182
	v_accvgpr_read_b32 v78, a184
	v_accvgpr_read_b32 v79, a185
	v_accvgpr_read_b32 v77, a183
	v_mul_f64 v[148:149], v[78:79], v[134:135]
	v_mul_f64 v[32:33], v[78:79], v[132:133]
	v_fmac_f64_e32 v[148:149], v[76:77], v[132:133]
	v_fma_f64 v[150:151], v[76:77], v[134:135], -v[32:33]
	v_accvgpr_read_b32 v76, a178
	v_accvgpr_read_b32 v78, a180
	v_accvgpr_read_b32 v79, a181
	v_accvgpr_read_b32 v77, a179
	v_mul_f64 v[152:153], v[78:79], v[138:139]
	v_mul_f64 v[32:33], v[78:79], v[136:137]
	v_fmac_f64_e32 v[152:153], v[76:77], v[136:137]
	v_fma_f64 v[154:155], v[76:77], v[138:139], -v[32:33]
	v_accvgpr_read_b32 v76, a174
	v_accvgpr_read_b32 v78, a176
	v_accvgpr_read_b32 v79, a177
	v_accvgpr_read_b32 v77, a175
	v_mul_f64 v[160:161], v[78:79], v[146:147]
	v_mul_f64 v[32:33], v[78:79], v[144:145]
	v_fmac_f64_e32 v[160:161], v[76:77], v[144:145]
	v_fma_f64 v[162:163], v[76:77], v[146:147], -v[32:33]
	v_accvgpr_read_b32 v76, a202
	v_accvgpr_read_b32 v78, a204
	v_accvgpr_read_b32 v79, a205
	v_accvgpr_read_b32 v77, a203
	v_mul_f64 v[168:169], v[78:79], v[178:179]
	v_mul_f64 v[32:33], v[78:79], v[176:177]
	v_fmac_f64_e32 v[168:169], v[76:77], v[176:177]
	v_fma_f64 v[170:171], v[76:77], v[178:179], -v[32:33]
	v_accvgpr_read_b32 v76, a198
	v_accvgpr_read_b32 v78, a200
	v_accvgpr_read_b32 v79, a201
	v_accvgpr_read_b32 v77, a199
	v_mul_f64 v[176:177], v[78:79], v[186:187]
	v_mul_f64 v[32:33], v[78:79], v[184:185]
	v_fmac_f64_e32 v[176:177], v[76:77], v[184:185]
	v_fma_f64 v[178:179], v[76:77], v[186:187], -v[32:33]
	v_accvgpr_read_b32 v76, a194
	v_accvgpr_read_b32 v78, a196
	v_accvgpr_read_b32 v79, a197
	v_accvgpr_read_b32 v77, a195
	v_mul_f64 v[184:185], v[78:79], v[194:195]
	v_mul_f64 v[32:33], v[78:79], v[192:193]
	v_fmac_f64_e32 v[184:185], v[76:77], v[192:193]
	v_fma_f64 v[186:187], v[76:77], v[194:195], -v[32:33]
	v_accvgpr_read_b32 v76, a190
	v_accvgpr_read_b32 v78, a192
	;; [unrolled: 1-line block ×4, first 2 shown]
	s_waitcnt lgkmcnt(0)
	v_mul_f64 v[32:33], v[78:79], v[196:197]
	v_add_f64 v[34:35], v[94:95], v[28:29]
	v_fma_f64 v[194:195], v[76:77], v[198:199], -v[32:33]
	v_add_f64 v[32:33], v[92:93], v[200:201]
	v_add_f64 v[34:35], v[34:35], v[36:37]
	;; [unrolled: 1-line block ×20, first 2 shown]
	v_mul_f64 v[192:193], v[78:79], v[198:199]
	v_add_f64 v[32:33], v[32:33], v[82:83]
	v_add_f64 v[86:87], v[34:35], v[202:203]
	;; [unrolled: 1-line block ×3, first 2 shown]
	v_fmac_f64_e32 v[192:193], v[76:77], v[196:197]
	v_add_f64 v[84:85], v[32:33], v[142:143]
	v_add_f64 v[32:33], v[200:201], v[142:143]
	v_add_f64 v[76:77], v[200:201], -v[142:143]
	v_add_f64 v[28:29], v[28:29], -v[202:203]
	v_mul_f64 v[126:127], v[34:35], s[20:21]
	v_mul_f64 v[134:135], v[34:35], s[14:15]
	;; [unrolled: 1-line block ×7, first 2 shown]
	v_fma_f64 v[128:129], s[22:23], v[76:77], v[126:127]
	v_fmac_f64_e32 v[126:127], s[18:19], v[76:77]
	v_mul_f64 v[130:131], v[28:29], s[10:11]
	v_fma_f64 v[136:137], s[16:17], v[76:77], v[134:135]
	v_fmac_f64_e32 v[134:135], s[10:11], v[76:77]
	v_mul_f64 v[138:139], v[28:29], s[0:1]
	;; [unrolled: 3-line block ×5, first 2 shown]
	v_fma_f64 v[218:219], s[42:43], v[76:77], v[34:35]
	v_fmac_f64_e32 v[34:35], s[38:39], v[76:77]
	v_add_f64 v[76:77], v[36:37], v[140:141]
	v_add_f64 v[36:37], v[36:37], -v[140:141]
	v_fma_f64 v[124:125], s[20:21], v[32:33], v[78:79]
	v_fma_f64 v[78:79], v[32:33], s[20:21], -v[78:79]
	v_fma_f64 v[132:133], s[14:15], v[32:33], v[130:131]
	v_fma_f64 v[130:131], v[32:33], s[14:15], -v[130:131]
	;; [unrolled: 2-line block ×6, first 2 shown]
	v_add_f64 v[32:33], v[94:95], v[34:35]
	v_add_f64 v[34:35], v[30:31], v[82:83]
	v_add_f64 v[30:31], v[30:31], -v[82:83]
	v_mul_f64 v[82:83], v[36:37], s[10:11]
	v_add_f64 v[124:125], v[92:93], v[124:125]
	v_add_f64 v[128:129], v[94:95], v[128:129]
	;; [unrolled: 1-line block ×23, first 2 shown]
	v_fma_f64 v[92:93], s[14:15], v[34:35], v[82:83]
	v_mul_f64 v[94:95], v[76:77], s[14:15]
	v_add_f64 v[92:93], v[92:93], v[124:125]
	v_fma_f64 v[124:125], s[16:17], v[30:31], v[94:95]
	v_fma_f64 v[82:83], v[34:35], s[14:15], -v[82:83]
	v_fmac_f64_e32 v[94:95], s[10:11], v[30:31]
	v_add_f64 v[78:79], v[82:83], v[78:79]
	v_add_f64 v[82:83], v[94:95], v[126:127]
	v_mul_f64 v[94:95], v[36:37], s[24:25]
	v_add_f64 v[124:125], v[124:125], v[128:129]
	v_fma_f64 v[126:127], s[26:27], v[34:35], v[94:95]
	v_mul_f64 v[128:129], v[76:77], s[26:27]
	v_fma_f64 v[94:95], v[34:35], s[26:27], -v[94:95]
	v_add_f64 v[126:127], v[126:127], v[132:133]
	v_fma_f64 v[132:133], s[28:29], v[30:31], v[128:129]
	v_add_f64 v[94:95], v[94:95], v[130:131]
	v_fmac_f64_e32 v[128:129], s[24:25], v[30:31]
	v_mul_f64 v[130:131], v[36:37], s[38:39]
	v_add_f64 v[132:133], v[132:133], v[136:137]
	v_add_f64 v[128:129], v[128:129], v[134:135]
	v_fma_f64 v[134:135], s[40:41], v[34:35], v[130:131]
	v_mul_f64 v[136:137], v[76:77], s[40:41]
	v_fma_f64 v[130:131], v[34:35], s[40:41], -v[130:131]
	v_fma_f64 v[140:141], s[42:43], v[30:31], v[136:137]
	v_add_f64 v[130:131], v[130:131], v[138:139]
	v_fmac_f64_e32 v[136:137], s[38:39], v[30:31]
	v_mul_f64 v[138:139], v[36:37], s[36:37]
	v_add_f64 v[134:135], v[134:135], v[142:143]
	v_add_f64 v[136:137], v[136:137], v[144:145]
	v_fma_f64 v[142:143], s[34:35], v[34:35], v[138:139]
	v_mul_f64 v[144:145], v[76:77], s[34:35]
	v_fma_f64 v[138:139], v[34:35], s[34:35], -v[138:139]
	v_add_f64 v[140:141], v[140:141], v[146:147]
	v_fma_f64 v[146:147], s[30:31], v[30:31], v[144:145]
	v_add_f64 v[138:139], v[138:139], v[196:197]
	v_fmac_f64_e32 v[144:145], s[36:37], v[30:31]
	v_mul_f64 v[196:197], v[36:37], s[8:9]
	v_add_f64 v[142:143], v[142:143], v[198:199]
	v_add_f64 v[144:145], v[144:145], v[200:201]
	v_fma_f64 v[198:199], s[2:3], v[34:35], v[196:197]
	v_mul_f64 v[200:201], v[76:77], s[2:3]
	v_mul_f64 v[76:77], v[76:77], s[20:21]
	v_add_f64 v[198:199], v[198:199], v[210:211]
	v_fma_f64 v[196:197], v[34:35], s[2:3], -v[196:197]
	v_mul_f64 v[36:37], v[36:37], s[22:23]
	v_fma_f64 v[210:211], s[18:19], v[30:31], v[76:77]
	v_fmac_f64_e32 v[76:77], s[22:23], v[30:31]
	v_add_f64 v[146:147], v[146:147], v[202:203]
	v_fma_f64 v[202:203], s[0:1], v[30:31], v[200:201]
	v_add_f64 v[196:197], v[196:197], v[208:209]
	v_fmac_f64_e32 v[200:201], s[8:9], v[30:31]
	v_fma_f64 v[208:209], s[20:21], v[34:35], v[36:37]
	v_fma_f64 v[34:35], v[34:35], s[20:21], -v[36:37]
	v_add_f64 v[30:31], v[76:77], v[32:33]
	v_add_f64 v[32:33], v[120:121], v[38:39]
	v_add_f64 v[36:37], v[120:121], -v[38:39]
	v_add_f64 v[38:39], v[122:123], -v[80:81]
	v_mul_f64 v[76:77], v[38:39], s[0:1]
	v_add_f64 v[28:29], v[34:35], v[28:29]
	v_add_f64 v[34:35], v[122:123], v[80:81]
	v_fma_f64 v[80:81], s[2:3], v[32:33], v[76:77]
	v_add_f64 v[80:81], v[80:81], v[92:93]
	v_mul_f64 v[92:93], v[34:35], s[2:3]
	v_fma_f64 v[120:121], s[8:9], v[36:37], v[92:93]
	v_fma_f64 v[76:77], v[32:33], s[2:3], -v[76:77]
	v_fmac_f64_e32 v[92:93], s[0:1], v[36:37]
	v_add_f64 v[76:77], v[76:77], v[78:79]
	v_add_f64 v[78:79], v[92:93], v[82:83]
	v_mul_f64 v[82:83], v[38:39], s[38:39]
	v_mul_f64 v[122:123], v[34:35], s[40:41]
	v_add_f64 v[120:121], v[120:121], v[124:125]
	v_fma_f64 v[92:93], s[40:41], v[32:33], v[82:83]
	v_fma_f64 v[124:125], s[42:43], v[36:37], v[122:123]
	v_fma_f64 v[82:83], v[32:33], s[40:41], -v[82:83]
	v_fmac_f64_e32 v[122:123], s[38:39], v[36:37]
	v_add_f64 v[82:83], v[82:83], v[94:95]
	v_add_f64 v[94:95], v[122:123], v[128:129]
	v_mul_f64 v[122:123], v[38:39], s[28:29]
	v_add_f64 v[92:93], v[92:93], v[126:127]
	v_fma_f64 v[126:127], s[26:27], v[32:33], v[122:123]
	v_fma_f64 v[122:123], v[32:33], s[26:27], -v[122:123]
	v_mul_f64 v[128:129], v[34:35], s[26:27]
	v_add_f64 v[122:123], v[122:123], v[130:131]
	v_mul_f64 v[130:131], v[38:39], s[22:23]
	v_add_f64 v[124:125], v[124:125], v[132:133]
	v_add_f64 v[126:127], v[126:127], v[134:135]
	v_fma_f64 v[132:133], s[24:25], v[36:37], v[128:129]
	v_fmac_f64_e32 v[128:129], s[28:29], v[36:37]
	v_fma_f64 v[134:135], s[20:21], v[32:33], v[130:131]
	v_fma_f64 v[130:131], v[32:33], s[20:21], -v[130:131]
	v_add_f64 v[128:129], v[128:129], v[136:137]
	v_mul_f64 v[136:137], v[34:35], s[20:21]
	v_add_f64 v[130:131], v[130:131], v[138:139]
	v_mul_f64 v[138:139], v[38:39], s[10:11]
	v_add_f64 v[132:133], v[132:133], v[140:141]
	v_add_f64 v[134:135], v[134:135], v[142:143]
	v_fma_f64 v[140:141], s[18:19], v[36:37], v[136:137]
	v_fmac_f64_e32 v[136:137], s[22:23], v[36:37]
	v_fma_f64 v[142:143], s[14:15], v[32:33], v[138:139]
	v_fma_f64 v[138:139], v[32:33], s[14:15], -v[138:139]
	v_mul_f64 v[38:39], v[38:39], s[30:31]
	v_add_f64 v[136:137], v[136:137], v[144:145]
	v_mul_f64 v[144:145], v[34:35], s[14:15]
	v_add_f64 v[138:139], v[138:139], v[196:197]
	v_fma_f64 v[196:197], s[34:35], v[32:33], v[38:39]
	v_mul_f64 v[34:35], v[34:35], s[34:35]
	v_fma_f64 v[32:33], v[32:33], s[34:35], -v[38:39]
	v_add_f64 v[38:39], v[114:115], -v[118:119]
	v_add_f64 v[140:141], v[140:141], v[146:147]
	v_add_f64 v[142:143], v[142:143], v[198:199]
	v_fma_f64 v[146:147], s[16:17], v[36:37], v[144:145]
	v_fmac_f64_e32 v[144:145], s[10:11], v[36:37]
	v_fma_f64 v[198:199], s[36:37], v[36:37], v[34:35]
	v_add_f64 v[28:29], v[32:33], v[28:29]
	v_fmac_f64_e32 v[34:35], s[30:31], v[36:37]
	v_add_f64 v[32:33], v[112:113], v[116:117]
	v_add_f64 v[36:37], v[112:113], -v[116:117]
	v_mul_f64 v[112:113], v[38:39], s[24:25]
	v_add_f64 v[30:31], v[34:35], v[30:31]
	v_add_f64 v[34:35], v[114:115], v[118:119]
	v_fma_f64 v[114:115], s[26:27], v[32:33], v[112:113]
	v_add_f64 v[80:81], v[114:115], v[80:81]
	v_mul_f64 v[114:115], v[34:35], s[26:27]
	v_fma_f64 v[112:113], v[32:33], s[26:27], -v[112:113]
	v_fma_f64 v[116:117], s[28:29], v[36:37], v[114:115]
	v_add_f64 v[76:77], v[112:113], v[76:77]
	v_fmac_f64_e32 v[114:115], s[24:25], v[36:37]
	v_mul_f64 v[112:113], v[38:39], s[36:37]
	v_add_f64 v[78:79], v[114:115], v[78:79]
	v_fma_f64 v[114:115], s[34:35], v[32:33], v[112:113]
	v_add_f64 v[92:93], v[114:115], v[92:93]
	v_mul_f64 v[114:115], v[34:35], s[34:35]
	v_fma_f64 v[112:113], v[32:33], s[34:35], -v[112:113]
	v_fma_f64 v[118:119], s[30:31], v[36:37], v[114:115]
	v_add_f64 v[82:83], v[112:113], v[82:83]
	v_fmac_f64_e32 v[114:115], s[36:37], v[36:37]
	v_mul_f64 v[112:113], v[38:39], s[22:23]
	v_add_f64 v[94:95], v[114:115], v[94:95]
	v_fma_f64 v[114:115], s[20:21], v[32:33], v[112:113]
	v_fma_f64 v[112:113], v[32:33], s[20:21], -v[112:113]
	v_add_f64 v[116:117], v[116:117], v[120:121]
	v_mul_f64 v[120:121], v[34:35], s[20:21]
	v_add_f64 v[112:113], v[112:113], v[122:123]
	v_mul_f64 v[122:123], v[38:39], s[0:1]
	v_add_f64 v[118:119], v[118:119], v[124:125]
	v_add_f64 v[114:115], v[114:115], v[126:127]
	v_fma_f64 v[124:125], s[18:19], v[36:37], v[120:121]
	v_fmac_f64_e32 v[120:121], s[22:23], v[36:37]
	v_fma_f64 v[126:127], s[2:3], v[32:33], v[122:123]
	v_fma_f64 v[122:123], v[32:33], s[2:3], -v[122:123]
	v_add_f64 v[120:121], v[120:121], v[128:129]
	v_mul_f64 v[128:129], v[34:35], s[2:3]
	v_add_f64 v[122:123], v[122:123], v[130:131]
	v_mul_f64 v[130:131], v[38:39], s[42:43]
	v_add_f64 v[124:125], v[124:125], v[132:133]
	v_add_f64 v[126:127], v[126:127], v[134:135]
	v_fma_f64 v[132:133], s[8:9], v[36:37], v[128:129]
	v_fmac_f64_e32 v[128:129], s[0:1], v[36:37]
	v_fma_f64 v[134:135], s[40:41], v[32:33], v[130:131]
	v_fma_f64 v[130:131], v[32:33], s[40:41], -v[130:131]
	v_mul_f64 v[38:39], v[38:39], s[16:17]
	v_add_f64 v[128:129], v[128:129], v[136:137]
	v_mul_f64 v[136:137], v[34:35], s[40:41]
	v_add_f64 v[130:131], v[130:131], v[138:139]
	v_fma_f64 v[138:139], s[14:15], v[32:33], v[38:39]
	v_mul_f64 v[34:35], v[34:35], s[14:15]
	v_fma_f64 v[32:33], v[32:33], s[14:15], -v[38:39]
	v_add_f64 v[38:39], v[106:107], -v[110:111]
	v_add_f64 v[132:133], v[132:133], v[140:141]
	v_add_f64 v[134:135], v[134:135], v[142:143]
	v_fma_f64 v[140:141], s[38:39], v[36:37], v[136:137]
	v_fmac_f64_e32 v[136:137], s[42:43], v[36:37]
	v_fma_f64 v[142:143], s[10:11], v[36:37], v[34:35]
	v_add_f64 v[28:29], v[32:33], v[28:29]
	v_fmac_f64_e32 v[34:35], s[16:17], v[36:37]
	v_add_f64 v[32:33], v[104:105], v[108:109]
	v_add_f64 v[36:37], v[104:105], -v[108:109]
	v_mul_f64 v[104:105], v[38:39], s[30:31]
	v_add_f64 v[30:31], v[34:35], v[30:31]
	v_add_f64 v[34:35], v[106:107], v[110:111]
	v_fma_f64 v[106:107], s[34:35], v[32:33], v[104:105]
	v_add_f64 v[80:81], v[106:107], v[80:81]
	v_mul_f64 v[106:107], v[34:35], s[34:35]
	v_fma_f64 v[104:105], v[32:33], s[34:35], -v[104:105]
	v_fma_f64 v[108:109], s[36:37], v[36:37], v[106:107]
	v_add_f64 v[76:77], v[104:105], v[76:77]
	v_fmac_f64_e32 v[106:107], s[30:31], v[36:37]
	v_mul_f64 v[104:105], v[38:39], s[8:9]
	v_add_f64 v[78:79], v[106:107], v[78:79]
	v_fma_f64 v[106:107], s[2:3], v[32:33], v[104:105]
	v_add_f64 v[92:93], v[106:107], v[92:93]
	v_mul_f64 v[106:107], v[34:35], s[2:3]
	v_fma_f64 v[104:105], v[32:33], s[2:3], -v[104:105]
	v_fma_f64 v[110:111], s[0:1], v[36:37], v[106:107]
	v_add_f64 v[82:83], v[104:105], v[82:83]
	v_fmac_f64_e32 v[106:107], s[8:9], v[36:37]
	v_mul_f64 v[104:105], v[38:39], s[10:11]
	v_add_f64 v[94:95], v[106:107], v[94:95]
	v_fma_f64 v[106:107], s[14:15], v[32:33], v[104:105]
	v_add_f64 v[108:109], v[108:109], v[116:117]
	v_add_f64 v[116:117], v[106:107], v[114:115]
	v_mul_f64 v[106:107], v[34:35], s[14:15]
	v_add_f64 v[200:201], v[200:201], v[212:213]
	v_fma_f64 v[114:115], s[16:17], v[36:37], v[106:107]
	v_fma_f64 v[104:105], v[32:33], s[14:15], -v[104:105]
	v_add_f64 v[144:145], v[144:145], v[200:201]
	v_add_f64 v[110:111], v[110:111], v[118:119]
	;; [unrolled: 1-line block ×4, first 2 shown]
	v_fmac_f64_e32 v[106:107], s[10:11], v[36:37]
	v_mul_f64 v[104:105], v[38:39], s[42:43]
	v_add_f64 v[202:203], v[202:203], v[214:215]
	v_add_f64 v[136:137], v[136:137], v[144:145]
	v_add_f64 v[144:145], v[106:107], v[120:121]
	v_fma_f64 v[106:107], s[40:41], v[32:33], v[104:105]
	v_add_f64 v[146:147], v[146:147], v[202:203]
	v_add_f64 v[126:127], v[106:107], v[126:127]
	v_mul_f64 v[106:107], v[34:35], s[40:41]
	v_fma_f64 v[104:105], v[32:33], s[40:41], -v[104:105]
	v_add_f64 v[208:209], v[208:209], v[216:217]
	v_add_f64 v[140:141], v[140:141], v[146:147]
	v_fma_f64 v[112:113], s[38:39], v[36:37], v[106:107]
	v_add_f64 v[146:147], v[104:105], v[122:123]
	v_fmac_f64_e32 v[106:107], s[42:43], v[36:37]
	v_mul_f64 v[104:105], v[38:39], s[22:23]
	v_add_f64 v[196:197], v[196:197], v[208:209]
	v_add_f64 v[128:129], v[106:107], v[128:129]
	v_fma_f64 v[106:107], s[20:21], v[32:33], v[104:105]
	v_fma_f64 v[104:105], v[32:33], s[20:21], -v[104:105]
	v_mul_f64 v[38:39], v[38:39], s[24:25]
	v_add_f64 v[210:211], v[210:211], v[218:219]
	v_add_f64 v[138:139], v[138:139], v[196:197]
	;; [unrolled: 1-line block ×3, first 2 shown]
	v_mul_f64 v[106:107], v[34:35], s[20:21]
	v_add_f64 v[130:131], v[104:105], v[130:131]
	v_fma_f64 v[104:105], s[26:27], v[32:33], v[38:39]
	v_mul_f64 v[34:35], v[34:35], s[26:27]
	v_fma_f64 v[32:33], v[32:33], s[26:27], -v[38:39]
	v_add_f64 v[38:39], v[98:99], -v[102:103]
	v_add_f64 v[198:199], v[198:199], v[210:211]
	v_add_f64 v[132:133], v[112:113], v[132:133]
	v_fma_f64 v[112:113], s[18:19], v[36:37], v[106:107]
	v_fmac_f64_e32 v[106:107], s[22:23], v[36:37]
	v_add_f64 v[138:139], v[104:105], v[138:139]
	v_fma_f64 v[104:105], s[28:29], v[36:37], v[34:35]
	v_add_f64 v[28:29], v[32:33], v[28:29]
	v_fmac_f64_e32 v[34:35], s[24:25], v[36:37]
	v_add_f64 v[32:33], v[96:97], v[100:101]
	v_add_f64 v[36:37], v[96:97], -v[100:101]
	v_mul_f64 v[96:97], v[38:39], s[38:39]
	v_add_f64 v[142:143], v[142:143], v[198:199]
	v_add_f64 v[30:31], v[34:35], v[30:31]
	;; [unrolled: 1-line block ×3, first 2 shown]
	v_fma_f64 v[98:99], s[40:41], v[32:33], v[96:97]
	v_add_f64 v[142:143], v[104:105], v[142:143]
	v_add_f64 v[104:105], v[98:99], v[80:81]
	v_mul_f64 v[80:81], v[34:35], s[40:41]
	v_fma_f64 v[96:97], v[32:33], s[40:41], -v[96:97]
	v_fma_f64 v[98:99], s[42:43], v[36:37], v[80:81]
	v_add_f64 v[96:97], v[96:97], v[76:77]
	v_fmac_f64_e32 v[80:81], s[38:39], v[36:37]
	v_mul_f64 v[76:77], v[38:39], s[22:23]
	v_add_f64 v[136:137], v[106:107], v[136:137]
	v_add_f64 v[106:107], v[98:99], v[108:109]
	;; [unrolled: 1-line block ×3, first 2 shown]
	v_fma_f64 v[78:79], s[20:21], v[32:33], v[76:77]
	v_add_f64 v[140:141], v[112:113], v[140:141]
	v_add_f64 v[112:113], v[78:79], v[92:93]
	v_mul_f64 v[78:79], v[34:35], s[20:21]
	v_fma_f64 v[76:77], v[32:33], s[20:21], -v[76:77]
	v_fma_f64 v[80:81], s[18:19], v[36:37], v[78:79]
	v_add_f64 v[100:101], v[76:77], v[82:83]
	v_fmac_f64_e32 v[78:79], s[22:23], v[36:37]
	v_mul_f64 v[76:77], v[38:39], s[30:31]
	v_add_f64 v[102:103], v[78:79], v[94:95]
	v_fma_f64 v[78:79], s[34:35], v[32:33], v[76:77]
	v_add_f64 v[120:121], v[78:79], v[116:117]
	v_mul_f64 v[78:79], v[34:35], s[34:35]
	v_fma_f64 v[76:77], v[32:33], s[34:35], -v[76:77]
	v_add_f64 v[114:115], v[80:81], v[110:111]
	v_fma_f64 v[80:81], s[36:37], v[36:37], v[78:79]
	v_add_f64 v[108:109], v[76:77], v[124:125]
	v_fmac_f64_e32 v[78:79], s[30:31], v[36:37]
	v_mul_f64 v[76:77], v[38:39], s[16:17]
	v_add_f64 v[110:111], v[78:79], v[144:145]
	v_fma_f64 v[78:79], s[14:15], v[32:33], v[76:77]
	v_add_f64 v[124:125], v[78:79], v[126:127]
	v_mul_f64 v[78:79], v[34:35], s[14:15]
	v_fma_f64 v[76:77], v[32:33], s[14:15], -v[76:77]
	v_add_f64 v[122:123], v[80:81], v[118:119]
	v_fma_f64 v[80:81], s[10:11], v[36:37], v[78:79]
	v_add_f64 v[116:117], v[76:77], v[146:147]
	v_fmac_f64_e32 v[78:79], s[16:17], v[36:37]
	v_mul_f64 v[76:77], v[38:39], s[24:25]
	v_add_f64 v[118:119], v[78:79], v[128:129]
	v_fma_f64 v[78:79], s[26:27], v[32:33], v[76:77]
	v_add_f64 v[126:127], v[80:81], v[132:133]
	v_add_f64 v[132:133], v[78:79], v[134:135]
	v_mul_f64 v[78:79], v[34:35], s[26:27]
	v_fma_f64 v[76:77], v[32:33], s[26:27], -v[76:77]
	v_mul_f64 v[38:39], v[38:39], s[8:9]
	v_fma_f64 v[80:81], s[28:29], v[36:37], v[78:79]
	v_add_f64 v[128:129], v[76:77], v[130:131]
	v_fmac_f64_e32 v[78:79], s[24:25], v[36:37]
	v_fma_f64 v[76:77], s[2:3], v[32:33], v[38:39]
	v_mul_f64 v[34:35], v[34:35], s[2:3]
	v_add_f64 v[130:131], v[78:79], v[136:137]
	v_add_f64 v[136:137], v[76:77], v[138:139]
	v_fma_f64 v[76:77], s[0:1], v[36:37], v[34:35]
	v_fmac_f64_e32 v[34:35], s[8:9], v[36:37]
	v_fma_f64 v[32:33], v[32:33], s[2:3], -v[38:39]
	v_add_f64 v[146:147], v[34:35], v[30:31]
	v_add_f64 v[30:31], v[90:91], v[190:191]
	;; [unrolled: 1-line block ×30, first 2 shown]
	v_add_f64 v[32:33], v[188:189], -v[192:193]
	v_add_f64 v[34:35], v[190:191], -v[194:195]
	v_mul_f64 v[76:77], v[30:31], s[20:21]
	v_mul_f64 v[92:93], v[30:31], s[14:15]
	;; [unrolled: 1-line block ×7, first 2 shown]
	v_fma_f64 v[78:79], s[22:23], v[32:33], v[76:77]
	v_fmac_f64_e32 v[76:77], s[18:19], v[32:33]
	v_mul_f64 v[80:81], v[34:35], s[10:11]
	v_fma_f64 v[94:95], s[16:17], v[32:33], v[92:93]
	v_fmac_f64_e32 v[92:93], s[10:11], v[32:33]
	v_mul_f64 v[188:189], v[34:35], s[0:1]
	v_fma_f64 v[194:195], s[8:9], v[32:33], v[192:193]
	v_fmac_f64_e32 v[192:193], s[0:1], v[32:33]
	v_mul_f64 v[196:197], v[34:35], s[24:25]
	v_fma_f64 v[202:203], s[28:29], v[32:33], v[200:201]
	v_fmac_f64_e32 v[200:201], s[24:25], v[32:33]
	v_mul_f64 v[208:209], v[34:35], s[30:31]
	v_fma_f64 v[214:215], s[36:37], v[32:33], v[212:213]
	v_fmac_f64_e32 v[212:213], s[30:31], v[32:33]
	v_mul_f64 v[34:35], v[34:35], s[38:39]
	v_fma_f64 v[218:219], s[42:43], v[32:33], v[30:31]
	v_fmac_f64_e32 v[30:31], s[38:39], v[32:33]
	v_fma_f64 v[38:39], s[20:21], v[28:29], v[36:37]
	v_add_f64 v[78:79], v[90:91], v[78:79]
	v_fma_f64 v[36:37], v[28:29], s[20:21], -v[36:37]
	v_add_f64 v[76:77], v[90:91], v[76:77]
	v_fma_f64 v[82:83], s[14:15], v[28:29], v[80:81]
	v_add_f64 v[94:95], v[90:91], v[94:95]
	v_fma_f64 v[80:81], v[28:29], s[14:15], -v[80:81]
	v_add_f64 v[92:93], v[90:91], v[92:93]
	;; [unrolled: 4-line block ×6, first 2 shown]
	v_add_f64 v[90:91], v[182:183], -v[186:187]
	v_add_f64 v[38:39], v[88:89], v[38:39]
	v_add_f64 v[36:37], v[88:89], v[36:37]
	;; [unrolled: 1-line block ×13, first 2 shown]
	v_add_f64 v[88:89], v[180:181], -v[184:185]
	v_mul_f64 v[180:181], v[90:91], s[10:11]
	v_add_f64 v[34:35], v[182:183], v[186:187]
	v_fma_f64 v[182:183], s[14:15], v[32:33], v[180:181]
	v_add_f64 v[38:39], v[182:183], v[38:39]
	v_mul_f64 v[182:183], v[34:35], s[14:15]
	v_fma_f64 v[180:181], v[32:33], s[14:15], -v[180:181]
	v_fma_f64 v[184:185], s[16:17], v[88:89], v[182:183]
	v_add_f64 v[36:37], v[180:181], v[36:37]
	v_fmac_f64_e32 v[182:183], s[10:11], v[88:89]
	v_mul_f64 v[180:181], v[90:91], s[24:25]
	v_add_f64 v[76:77], v[182:183], v[76:77]
	v_fma_f64 v[182:183], s[26:27], v[32:33], v[180:181]
	v_add_f64 v[82:83], v[182:183], v[82:83]
	v_mul_f64 v[182:183], v[34:35], s[26:27]
	v_fma_f64 v[180:181], v[32:33], s[26:27], -v[180:181]
	v_add_f64 v[78:79], v[184:185], v[78:79]
	v_fma_f64 v[184:185], s[28:29], v[88:89], v[182:183]
	v_add_f64 v[80:81], v[180:181], v[80:81]
	v_fmac_f64_e32 v[182:183], s[24:25], v[88:89]
	v_mul_f64 v[180:181], v[90:91], s[38:39]
	v_add_f64 v[92:93], v[182:183], v[92:93]
	v_fma_f64 v[182:183], s[40:41], v[32:33], v[180:181]
	v_fma_f64 v[180:181], v[32:33], s[40:41], -v[180:181]
	v_add_f64 v[94:95], v[184:185], v[94:95]
	v_mul_f64 v[184:185], v[34:35], s[40:41]
	v_add_f64 v[180:181], v[180:181], v[188:189]
	v_mul_f64 v[188:189], v[90:91], s[36:37]
	v_add_f64 v[182:183], v[182:183], v[190:191]
	v_fma_f64 v[186:187], s[42:43], v[88:89], v[184:185]
	v_fmac_f64_e32 v[184:185], s[38:39], v[88:89]
	v_fma_f64 v[190:191], s[34:35], v[32:33], v[188:189]
	v_fma_f64 v[188:189], v[32:33], s[34:35], -v[188:189]
	v_add_f64 v[184:185], v[184:185], v[192:193]
	v_mul_f64 v[192:193], v[34:35], s[34:35]
	v_add_f64 v[188:189], v[188:189], v[196:197]
	v_mul_f64 v[196:197], v[90:91], s[8:9]
	v_add_f64 v[186:187], v[186:187], v[194:195]
	v_add_f64 v[190:191], v[190:191], v[198:199]
	v_fma_f64 v[194:195], s[30:31], v[88:89], v[192:193]
	v_fmac_f64_e32 v[192:193], s[36:37], v[88:89]
	v_fma_f64 v[198:199], s[2:3], v[32:33], v[196:197]
	v_fma_f64 v[196:197], v[32:33], s[2:3], -v[196:197]
	v_mul_f64 v[90:91], v[90:91], s[22:23]
	v_add_f64 v[192:193], v[192:193], v[200:201]
	v_mul_f64 v[200:201], v[34:35], s[2:3]
	v_add_f64 v[196:197], v[196:197], v[208:209]
	v_fma_f64 v[208:209], s[20:21], v[32:33], v[90:91]
	v_mul_f64 v[34:35], v[34:35], s[20:21]
	v_fma_f64 v[32:33], v[32:33], s[20:21], -v[90:91]
	v_add_f64 v[90:91], v[174:175], -v[178:179]
	v_add_f64 v[194:195], v[194:195], v[202:203]
	v_add_f64 v[198:199], v[198:199], v[210:211]
	v_fma_f64 v[202:203], s[0:1], v[88:89], v[200:201]
	v_fmac_f64_e32 v[200:201], s[8:9], v[88:89]
	v_fma_f64 v[210:211], s[18:19], v[88:89], v[34:35]
	v_add_f64 v[28:29], v[32:33], v[28:29]
	v_fmac_f64_e32 v[34:35], s[22:23], v[88:89]
	v_add_f64 v[32:33], v[172:173], v[176:177]
	v_add_f64 v[88:89], v[172:173], -v[176:177]
	v_mul_f64 v[172:173], v[90:91], s[0:1]
	v_add_f64 v[30:31], v[34:35], v[30:31]
	v_add_f64 v[34:35], v[174:175], v[178:179]
	v_fma_f64 v[174:175], s[2:3], v[32:33], v[172:173]
	v_add_f64 v[38:39], v[174:175], v[38:39]
	v_mul_f64 v[174:175], v[34:35], s[2:3]
	v_fma_f64 v[172:173], v[32:33], s[2:3], -v[172:173]
	v_fma_f64 v[176:177], s[8:9], v[88:89], v[174:175]
	v_add_f64 v[36:37], v[172:173], v[36:37]
	v_fmac_f64_e32 v[174:175], s[0:1], v[88:89]
	v_mul_f64 v[172:173], v[90:91], s[38:39]
	v_add_f64 v[76:77], v[174:175], v[76:77]
	v_fma_f64 v[174:175], s[40:41], v[32:33], v[172:173]
	v_add_f64 v[82:83], v[174:175], v[82:83]
	v_mul_f64 v[174:175], v[34:35], s[40:41]
	v_fma_f64 v[172:173], v[32:33], s[40:41], -v[172:173]
	v_add_f64 v[78:79], v[176:177], v[78:79]
	v_fma_f64 v[176:177], s[42:43], v[88:89], v[174:175]
	v_add_f64 v[80:81], v[172:173], v[80:81]
	v_fmac_f64_e32 v[174:175], s[38:39], v[88:89]
	v_mul_f64 v[172:173], v[90:91], s[28:29]
	v_add_f64 v[92:93], v[174:175], v[92:93]
	v_fma_f64 v[174:175], s[26:27], v[32:33], v[172:173]
	v_fma_f64 v[172:173], v[32:33], s[26:27], -v[172:173]
	v_add_f64 v[94:95], v[176:177], v[94:95]
	v_mul_f64 v[176:177], v[34:35], s[26:27]
	v_add_f64 v[172:173], v[172:173], v[180:181]
	v_mul_f64 v[180:181], v[90:91], s[22:23]
	v_add_f64 v[174:175], v[174:175], v[182:183]
	v_fma_f64 v[178:179], s[24:25], v[88:89], v[176:177]
	v_fmac_f64_e32 v[176:177], s[28:29], v[88:89]
	v_fma_f64 v[182:183], s[20:21], v[32:33], v[180:181]
	v_fma_f64 v[180:181], v[32:33], s[20:21], -v[180:181]
	v_add_f64 v[176:177], v[176:177], v[184:185]
	v_mul_f64 v[184:185], v[34:35], s[20:21]
	v_add_f64 v[180:181], v[180:181], v[188:189]
	v_mul_f64 v[188:189], v[90:91], s[10:11]
	v_add_f64 v[178:179], v[178:179], v[186:187]
	v_add_f64 v[182:183], v[182:183], v[190:191]
	v_fma_f64 v[186:187], s[18:19], v[88:89], v[184:185]
	v_fmac_f64_e32 v[184:185], s[22:23], v[88:89]
	v_fma_f64 v[190:191], s[14:15], v[32:33], v[188:189]
	v_fma_f64 v[188:189], v[32:33], s[14:15], -v[188:189]
	v_mul_f64 v[90:91], v[90:91], s[30:31]
	v_add_f64 v[184:185], v[184:185], v[192:193]
	v_mul_f64 v[192:193], v[34:35], s[14:15]
	v_add_f64 v[188:189], v[188:189], v[196:197]
	v_fma_f64 v[196:197], s[34:35], v[32:33], v[90:91]
	v_mul_f64 v[34:35], v[34:35], s[34:35]
	v_fma_f64 v[32:33], v[32:33], s[34:35], -v[90:91]
	v_add_f64 v[90:91], v[166:167], -v[170:171]
	v_add_f64 v[186:187], v[186:187], v[194:195]
	v_add_f64 v[190:191], v[190:191], v[198:199]
	v_fma_f64 v[194:195], s[16:17], v[88:89], v[192:193]
	v_fmac_f64_e32 v[192:193], s[10:11], v[88:89]
	v_fma_f64 v[198:199], s[36:37], v[88:89], v[34:35]
	v_add_f64 v[28:29], v[32:33], v[28:29]
	v_fmac_f64_e32 v[34:35], s[30:31], v[88:89]
	v_add_f64 v[32:33], v[164:165], v[168:169]
	v_add_f64 v[88:89], v[164:165], -v[168:169]
	v_mul_f64 v[164:165], v[90:91], s[24:25]
	v_add_f64 v[30:31], v[34:35], v[30:31]
	;; [unrolled: 60-line block ×3, first 2 shown]
	v_add_f64 v[34:35], v[158:159], v[162:163]
	v_fma_f64 v[158:159], s[34:35], v[32:33], v[156:157]
	v_add_f64 v[38:39], v[158:159], v[38:39]
	v_mul_f64 v[158:159], v[34:35], s[34:35]
	v_fma_f64 v[156:157], v[32:33], s[34:35], -v[156:157]
	v_fma_f64 v[160:161], s[36:37], v[88:89], v[158:159]
	v_add_f64 v[36:37], v[156:157], v[36:37]
	v_fmac_f64_e32 v[158:159], s[30:31], v[88:89]
	v_mul_f64 v[156:157], v[90:91], s[8:9]
	v_add_f64 v[76:77], v[158:159], v[76:77]
	v_fma_f64 v[158:159], s[2:3], v[32:33], v[156:157]
	v_add_f64 v[82:83], v[158:159], v[82:83]
	v_mul_f64 v[158:159], v[34:35], s[2:3]
	v_add_f64 v[78:79], v[160:161], v[78:79]
	v_fma_f64 v[160:161], s[0:1], v[88:89], v[158:159]
	v_fmac_f64_e32 v[158:159], s[8:9], v[88:89]
	v_add_f64 v[160:161], v[160:161], v[94:95]
	v_fma_f64 v[94:95], v[32:33], s[2:3], -v[156:157]
	v_add_f64 v[156:157], v[158:159], v[92:93]
	v_mul_f64 v[92:93], v[90:91], s[10:11]
	v_add_f64 v[80:81], v[94:95], v[80:81]
	v_fma_f64 v[94:95], s[14:15], v[32:33], v[92:93]
	v_add_f64 v[158:159], v[94:95], v[166:167]
	v_mul_f64 v[94:95], v[34:35], s[14:15]
	v_fma_f64 v[92:93], v[32:33], s[14:15], -v[92:93]
	v_fma_f64 v[162:163], s[16:17], v[88:89], v[94:95]
	v_add_f64 v[164:165], v[92:93], v[164:165]
	v_fmac_f64_e32 v[94:95], s[10:11], v[88:89]
	v_mul_f64 v[92:93], v[90:91], s[42:43]
	v_add_f64 v[166:167], v[94:95], v[168:169]
	v_fma_f64 v[94:95], s[40:41], v[32:33], v[92:93]
	v_add_f64 v[168:169], v[94:95], v[174:175]
	v_mul_f64 v[94:95], v[34:35], s[40:41]
	v_fma_f64 v[92:93], v[32:33], s[40:41], -v[92:93]
	v_add_f64 v[162:163], v[162:163], v[170:171]
	v_fma_f64 v[170:171], s[38:39], v[88:89], v[94:95]
	v_add_f64 v[172:173], v[92:93], v[172:173]
	v_fmac_f64_e32 v[94:95], s[42:43], v[88:89]
	v_mul_f64 v[92:93], v[90:91], s[22:23]
	v_add_f64 v[200:201], v[200:201], v[212:213]
	v_add_f64 v[208:209], v[208:209], v[216:217]
	;; [unrolled: 1-line block ×4, first 2 shown]
	v_fma_f64 v[94:95], s[20:21], v[32:33], v[92:93]
	v_add_f64 v[202:203], v[202:203], v[214:215]
	v_add_f64 v[192:193], v[192:193], v[200:201]
	;; [unrolled: 1-line block ×5, first 2 shown]
	v_mul_f64 v[94:95], v[34:35], s[20:21]
	v_fma_f64 v[92:93], v[32:33], s[20:21], -v[92:93]
	v_mul_f64 v[90:91], v[90:91], s[24:25]
	v_add_f64 v[194:195], v[194:195], v[202:203]
	v_add_f64 v[184:185], v[184:185], v[192:193]
	;; [unrolled: 1-line block ×5, first 2 shown]
	v_fma_f64 v[178:179], s[18:19], v[88:89], v[94:95]
	v_add_f64 v[180:181], v[92:93], v[180:181]
	v_fmac_f64_e32 v[94:95], s[22:23], v[88:89]
	v_fma_f64 v[92:93], s[26:27], v[32:33], v[90:91]
	v_mul_f64 v[34:35], v[34:35], s[26:27]
	v_fma_f64 v[32:33], v[32:33], s[26:27], -v[90:91]
	v_add_f64 v[198:199], v[150:151], -v[154:155]
	v_add_f64 v[186:187], v[186:187], v[194:195]
	v_add_f64 v[182:183], v[94:95], v[184:185]
	;; [unrolled: 1-line block ×3, first 2 shown]
	v_fma_f64 v[92:93], s[28:29], v[88:89], v[34:35]
	v_add_f64 v[188:189], v[32:33], v[28:29]
	v_fmac_f64_e32 v[34:35], s[24:25], v[88:89]
	v_add_f64 v[192:193], v[148:149], v[152:153]
	v_add_f64 v[194:195], v[150:151], v[154:155]
	v_mul_f64 v[32:33], v[198:199], s[38:39]
	v_add_f64 v[178:179], v[178:179], v[186:187]
	v_add_f64 v[186:187], v[92:93], v[190:191]
	;; [unrolled: 1-line block ×3, first 2 shown]
	v_add_f64 v[196:197], v[148:149], -v[152:153]
	v_fma_f64 v[28:29], s[40:41], v[192:193], v[32:33]
	v_mul_f64 v[34:35], v[194:195], s[40:41]
	v_fma_f64 v[32:33], v[192:193], s[40:41], -v[32:33]
	v_add_f64 v[28:29], v[28:29], v[38:39]
	v_fma_f64 v[30:31], s[42:43], v[196:197], v[34:35]
	v_add_f64 v[92:93], v[32:33], v[36:37]
	v_fmac_f64_e32 v[34:35], s[38:39], v[196:197]
	v_mul_f64 v[36:37], v[198:199], s[22:23]
	v_mul_f64 v[38:39], v[194:195], s[20:21]
	v_add_f64 v[30:31], v[30:31], v[78:79]
	v_add_f64 v[94:95], v[34:35], v[76:77]
	v_fma_f64 v[32:33], s[20:21], v[192:193], v[36:37]
	v_fma_f64 v[34:35], s[18:19], v[196:197], v[38:39]
	v_fma_f64 v[36:37], v[192:193], s[20:21], -v[36:37]
	v_fmac_f64_e32 v[38:39], s[22:23], v[196:197]
	v_mul_f64 v[76:77], v[198:199], s[30:31]
	v_mul_f64 v[78:79], v[194:195], s[34:35]
	v_add_f64 v[88:89], v[36:37], v[80:81]
	v_add_f64 v[90:91], v[38:39], v[156:157]
	v_fma_f64 v[36:37], s[34:35], v[192:193], v[76:77]
	v_fma_f64 v[38:39], s[36:37], v[196:197], v[78:79]
	v_fma_f64 v[76:77], v[192:193], s[34:35], -v[76:77]
	v_fmac_f64_e32 v[78:79], s[30:31], v[196:197]
	v_add_f64 v[36:37], v[36:37], v[158:159]
	v_add_f64 v[76:77], v[76:77], v[164:165]
	;; [unrolled: 1-line block ×3, first 2 shown]
	v_mul_f64 v[148:149], v[198:199], s[16:17]
	v_mul_f64 v[150:151], v[194:195], s[14:15]
	v_mul_f64 v[156:157], v[198:199], s[24:25]
	v_mul_f64 v[158:159], v[194:195], s[26:27]
	v_mul_f64 v[164:165], v[198:199], s[8:9]
	v_mul_f64 v[166:167], v[194:195], s[2:3]
	v_add_f64 v[32:33], v[32:33], v[82:83]
	v_add_f64 v[34:35], v[34:35], v[160:161]
	;; [unrolled: 1-line block ×3, first 2 shown]
	v_fma_f64 v[80:81], s[14:15], v[192:193], v[148:149]
	v_fma_f64 v[82:83], s[10:11], v[196:197], v[150:151]
	v_fma_f64 v[148:149], v[192:193], s[14:15], -v[148:149]
	v_fmac_f64_e32 v[150:151], s[16:17], v[196:197]
	v_fma_f64 v[152:153], s[26:27], v[192:193], v[156:157]
	v_fma_f64 v[154:155], s[28:29], v[196:197], v[158:159]
	v_fma_f64 v[156:157], v[192:193], s[26:27], -v[156:157]
	v_fmac_f64_e32 v[158:159], s[24:25], v[196:197]
	;; [unrolled: 4-line block ×3, first 2 shown]
	v_add_f64 v[148:149], v[148:149], v[172:173]
	v_add_f64 v[150:151], v[150:151], v[174:175]
	;; [unrolled: 1-line block ×12, first 2 shown]
	s_waitcnt lgkmcnt(0)
	; wave barrier
	ds_write_b128 v207, v[84:87]
	ds_write_b128 v207, v[104:107] offset:416
	ds_write_b128 v207, v[112:115] offset:832
	;; [unrolled: 1-line block ×12, first 2 shown]
	ds_write_b128 v241, v[140:143]
	ds_write_b128 v241, v[28:31] offset:416
	ds_write_b128 v241, v[32:35] offset:832
	;; [unrolled: 1-line block ×12, first 2 shown]
	s_waitcnt lgkmcnt(0)
	; wave barrier
	s_waitcnt lgkmcnt(0)
	ds_read_b128 v[112:115], v204
	ds_read_b128 v[108:111], v204 offset:832
	ds_read_b128 v[184:187], v204 offset:5408
	;; [unrolled: 1-line block ×23, first 2 shown]
	s_and_saveexec_b64 s[0:1], vcc
	s_cbranch_execz .LBB0_9
; %bb.8:
	ds_read_b128 v[88:91], v204 offset:4992
	ds_read_b128 v[92:95], v204 offset:10400
	;; [unrolled: 1-line block ×4, first 2 shown]
.LBB0_9:
	s_or_b64 exec, exec, s[0:1]
	s_waitcnt lgkmcnt(14)
	v_mul_f64 v[80:81], v[6:7], v[162:163]
	v_mul_f64 v[6:7], v[6:7], v[160:161]
	v_fmac_f64_e32 v[80:81], v[4:5], v[160:161]
	v_fma_f64 v[82:83], v[4:5], v[162:163], -v[6:7]
	s_waitcnt lgkmcnt(13)
	v_mul_f64 v[160:161], v[22:23], v[166:167]
	v_mul_f64 v[4:5], v[22:23], v[164:165]
	v_fmac_f64_e32 v[160:161], v[20:21], v[164:165]
	v_fma_f64 v[162:163], v[20:21], v[166:167], -v[4:5]
	;; [unrolled: 5-line block ×4, first 2 shown]
	v_mul_f64 v[154:155], v[46:47], v[150:151]
	v_mul_f64 v[4:5], v[46:47], v[148:149]
	v_fmac_f64_e32 v[154:155], v[44:45], v[148:149]
	v_fma_f64 v[148:149], v[44:45], v[150:151], -v[4:5]
	v_mul_f64 v[150:151], v[50:51], v[146:147]
	v_mul_f64 v[4:5], v[50:51], v[144:145]
	v_fmac_f64_e32 v[150:151], v[48:49], v[144:145]
	v_fma_f64 v[48:49], v[48:49], v[146:147], -v[4:5]
	s_waitcnt lgkmcnt(8)
	v_mul_f64 v[50:51], v[42:43], v[138:139]
	v_mul_f64 v[4:5], v[42:43], v[136:137]
	v_fmac_f64_e32 v[50:51], v[40:41], v[136:137]
	v_fma_f64 v[136:137], v[40:41], v[138:139], -v[4:5]
	s_waitcnt lgkmcnt(5)
	;; [unrolled: 5-line block ×3, first 2 shown]
	v_mul_f64 v[142:143], v[62:63], v[134:135]
	v_mul_f64 v[4:5], v[62:63], v[132:133]
	;; [unrolled: 1-line block ×4, first 2 shown]
	v_fmac_f64_e32 v[142:143], v[60:61], v[132:133]
	v_fma_f64 v[132:133], v[60:61], v[134:135], -v[4:5]
	s_waitcnt lgkmcnt(1)
	v_mul_f64 v[134:135], v[54:55], v[130:131]
	v_mul_f64 v[4:5], v[54:55], v[128:129]
	;; [unrolled: 1-line block ×4, first 2 shown]
	v_fmac_f64_e32 v[32:33], v[0:1], v[180:181]
	v_fma_f64 v[0:1], v[0:1], v[182:183], -v[2:3]
	v_mul_f64 v[2:3], v[250:251], v[178:179]
	v_mul_f64 v[34:35], v[250:251], v[176:177]
	;; [unrolled: 1-line block ×4, first 2 shown]
	v_fmac_f64_e32 v[134:135], v[52:53], v[128:129]
	v_fma_f64 v[128:129], v[52:53], v[130:131], -v[4:5]
	v_mul_f64 v[130:131], v[74:75], v[126:127]
	v_mul_f64 v[4:5], v[74:75], v[124:125]
	v_fmac_f64_e32 v[28:29], v[252:253], v[184:185]
	v_fma_f64 v[30:31], v[252:253], v[186:187], -v[30:31]
	v_fmac_f64_e32 v[2:3], v[248:249], v[176:177]
	v_fma_f64 v[34:35], v[248:249], v[178:179], -v[34:35]
	;; [unrolled: 2-line block ×3, first 2 shown]
	v_mul_f64 v[76:77], v[14:15], v[170:171]
	v_mul_f64 v[8:9], v[14:15], v[168:169]
	v_fmac_f64_e32 v[130:131], v[72:73], v[124:125]
	v_fma_f64 v[124:125], v[72:73], v[126:127], -v[4:5]
	v_mul_f64 v[126:127], v[70:71], v[122:123]
	v_mul_f64 v[4:5], v[70:71], v[120:121]
	v_fmac_f64_e32 v[76:77], v[12:13], v[168:169]
	v_fma_f64 v[78:79], v[12:13], v[170:171], -v[8:9]
	v_fmac_f64_e32 v[126:127], v[68:69], v[120:121]
	v_fma_f64 v[120:121], v[68:69], v[122:123], -v[4:5]
	s_waitcnt lgkmcnt(0)
	v_mul_f64 v[122:123], v[66:67], v[118:119]
	v_mul_f64 v[4:5], v[66:67], v[116:117]
	v_add_f64 v[10:11], v[28:29], -v[2:3]
	v_add_f64 v[8:9], v[30:31], -v[34:35]
	v_fmac_f64_e32 v[122:123], v[64:65], v[116:117]
	v_fma_f64 v[116:117], v[64:65], v[118:119], -v[4:5]
	v_add_f64 v[12:13], v[112:113], -v[32:33]
	v_add_f64 v[14:15], v[114:115], -v[0:1]
	v_fma_f64 v[0:1], v[28:29], 2.0, -v[10:11]
	v_fma_f64 v[2:3], v[30:31], 2.0, -v[8:9]
	v_add_f64 v[28:29], v[108:109], -v[76:77]
	v_add_f64 v[30:31], v[110:111], -v[78:79]
	;; [unrolled: 1-line block ×6, first 2 shown]
	v_fma_f64 v[4:5], v[112:113], 2.0, -v[12:13]
	v_fma_f64 v[6:7], v[114:115], 2.0, -v[14:15]
	v_add_f64 v[26:27], v[36:37], -v[80:81]
	v_add_f64 v[24:25], v[38:39], -v[82:83]
	;; [unrolled: 1-line block ×6, first 2 shown]
	v_fma_f64 v[52:53], v[100:101], 2.0, -v[60:61]
	v_fma_f64 v[54:55], v[102:103], 2.0, -v[62:63]
	v_add_f64 v[58:59], v[154:155], -v[50:51]
	v_add_f64 v[56:57], v[148:149], -v[136:137]
	v_fma_f64 v[68:69], v[96:97], 2.0, -v[76:77]
	v_fma_f64 v[70:71], v[98:99], 2.0, -v[78:79]
	v_add_f64 v[74:75], v[138:139], -v[134:135]
	v_add_f64 v[72:73], v[140:141], -v[128:129]
	;; [unrolled: 1-line block ×8, first 2 shown]
	v_fma_f64 v[20:21], v[108:109], 2.0, -v[28:29]
	v_fma_f64 v[22:23], v[110:111], 2.0, -v[30:31]
	v_fma_f64 v[16:17], v[36:37], 2.0, -v[26:27]
	v_fma_f64 v[18:19], v[38:39], 2.0, -v[24:25]
	v_fma_f64 v[36:37], v[104:105], 2.0, -v[44:45]
	v_fma_f64 v[38:39], v[106:107], 2.0, -v[46:47]
	v_fma_f64 v[32:33], v[160:161], 2.0, -v[42:43]
	v_fma_f64 v[34:35], v[162:163], 2.0, -v[40:41]
	v_fma_f64 v[48:49], v[154:155], 2.0, -v[58:59]
	v_fma_f64 v[50:51], v[148:149], 2.0, -v[56:57]
	v_fma_f64 v[64:65], v[138:139], 2.0, -v[74:75]
	v_fma_f64 v[66:67], v[140:141], 2.0, -v[72:73]
	v_fma_f64 v[84:85], v[84:85], 2.0, -v[100:101]
	v_fma_f64 v[86:87], v[86:87], 2.0, -v[102:103]
	v_fma_f64 v[80:81], v[130:131], 2.0, -v[98:99]
	v_fma_f64 v[82:83], v[124:125], 2.0, -v[96:97]
	v_fma_f64 v[4:5], v[4:5], 2.0, -v[0:1]
	v_fma_f64 v[6:7], v[6:7], 2.0, -v[2:3]
	v_add_f64 v[8:9], v[12:13], v[8:9]
	v_add_f64 v[10:11], v[14:15], -v[10:11]
	v_add_f64 v[16:17], v[20:21], -v[16:17]
	v_add_f64 v[18:19], v[22:23], -v[18:19]
	v_add_f64 v[24:25], v[28:29], v[24:25]
	v_add_f64 v[26:27], v[30:31], -v[26:27]
	v_add_f64 v[32:33], v[36:37], -v[32:33]
	v_add_f64 v[34:35], v[38:39], -v[34:35]
	;; [unrolled: 4-line block ×5, first 2 shown]
	v_add_f64 v[96:97], v[100:101], v[96:97]
	v_add_f64 v[98:99], v[102:103], -v[98:99]
	v_fma_f64 v[12:13], v[12:13], 2.0, -v[8:9]
	v_fma_f64 v[14:15], v[14:15], 2.0, -v[10:11]
	;; [unrolled: 1-line block ×22, first 2 shown]
	ds_write_b128 v204, v[4:7]
	ds_write_b128 v204, v[12:15] offset:5408
	ds_write_b128 v204, v[0:3] offset:10816
	;; [unrolled: 1-line block ×23, first 2 shown]
	s_and_saveexec_b64 s[0:1], vcc
	s_cbranch_execz .LBB0_11
; %bb.10:
	v_accvgpr_read_b32 v28, a214
	v_accvgpr_read_b32 v32, a218
	;; [unrolled: 1-line block ×8, first 2 shown]
	v_mul_f64 v[0:1], v[30:31], v[32:33]
	v_accvgpr_read_b32 v20, a206
	v_accvgpr_read_b32 v24, a210
	;; [unrolled: 1-line block ×3, first 2 shown]
	v_fma_f64 v[0:1], v[28:29], v[34:35], -v[0:1]
	v_accvgpr_read_b32 v22, a208
	v_accvgpr_read_b32 v23, a209
	;; [unrolled: 1-line block ×6, first 2 shown]
	v_add_f64 v[8:9], v[90:91], -v[0:1]
	v_accvgpr_read_b32 v21, a207
	v_mul_f64 v[12:13], v[22:23], v[94:95]
	v_accvgpr_read_b32 v25, a211
	v_accvgpr_read_b32 v37, a223
	v_mul_f64 v[0:1], v[26:27], v[38:39]
	v_fmac_f64_e32 v[12:13], v[20:21], v[92:93]
	v_fmac_f64_e32 v[0:1], v[24:25], v[36:37]
	v_add_f64 v[16:17], v[12:13], -v[0:1]
	v_mul_f64 v[0:1], v[30:31], v[34:35]
	v_fmac_f64_e32 v[0:1], v[28:29], v[32:33]
	v_add_f64 v[18:19], v[88:89], -v[0:1]
	v_mul_f64 v[0:1], v[22:23], v[92:93]
	v_fma_f64 v[10:11], v[20:21], v[94:95], -v[0:1]
	v_mul_f64 v[0:1], v[26:27], v[36:37]
	v_fma_f64 v[0:1], v[24:25], v[38:39], -v[0:1]
	v_add_f64 v[2:3], v[8:9], -v[16:17]
	v_add_f64 v[14:15], v[10:11], -v[0:1]
	v_fma_f64 v[6:7], v[8:9], 2.0, -v[2:3]
	v_fma_f64 v[8:9], v[90:91], 2.0, -v[8:9]
	;; [unrolled: 1-line block ×3, first 2 shown]
	v_add_f64 v[0:1], v[18:19], v[14:15]
	v_add_f64 v[10:11], v[8:9], -v[10:11]
	v_fma_f64 v[4:5], v[18:19], 2.0, -v[0:1]
	v_fma_f64 v[14:15], v[8:9], 2.0, -v[10:11]
	;; [unrolled: 1-line block ×4, first 2 shown]
	v_add_f64 v[8:9], v[18:19], -v[8:9]
	v_fma_f64 v[12:13], v[18:19], 2.0, -v[8:9]
	ds_write_b128 v204, v[12:15] offset:4992
	ds_write_b128 v204, v[4:7] offset:10400
	;; [unrolled: 1-line block ×4, first 2 shown]
.LBB0_11:
	s_or_b64 exec, exec, s[0:1]
	s_waitcnt lgkmcnt(0)
	; wave barrier
	s_waitcnt lgkmcnt(0)
	ds_read_b128 v[4:7], v204
	v_accvgpr_read_b32 v2, a94
	v_mad_u64_u32 v[14:15], s[0:1], s6, v2, 0
	v_mov_b32_e32 v0, v15
	v_accvgpr_read_b32 v16, a96
	v_mad_u64_u32 v[0:1], s[0:1], s7, v2, v[0:1]
	v_accvgpr_read_b32 v18, a98
	v_accvgpr_read_b32 v19, a99
	v_mov_b32_e32 v15, v0
	ds_read_b128 v[0:3], v204 offset:832
	v_accvgpr_read_b32 v17, a97
	s_waitcnt lgkmcnt(1)
	v_mul_f64 v[8:9], v[18:19], v[6:7]
	v_fmac_f64_e32 v[8:9], v[16:17], v[4:5]
	s_mov_b32 s0, 0x7ab2bedd
	v_mul_f64 v[4:5], v[18:19], v[4:5]
	s_mov_b32 s1, 0x3f483c97
	v_fma_f64 v[4:5], v[16:17], v[6:7], -v[4:5]
	v_mad_u64_u32 v[16:17], s[2:3], s4, v206, 0
	v_mul_f64 v[10:11], v[4:5], s[0:1]
	v_mov_b32_e32 v4, v17
	v_mad_u64_u32 v[4:5], s[2:3], s5, v206, v[4:5]
	v_mov_b32_e32 v17, v4
	ds_read_b128 v[4:7], v204 offset:10816
	v_mov_b32_e32 v12, s12
	v_mov_b32_e32 v13, s13
	v_lshl_add_u64 v[12:13], v[14:15], 4, v[12:13]
	v_accvgpr_read_b32 v21, a3
	v_mul_f64 v[8:9], v[8:9], s[0:1]
	v_lshl_add_u64 v[14:15], v[16:17], 4, v[12:13]
	v_accvgpr_read_b32 v20, a2
	global_store_dwordx4 v[14:15], v[8:11], off
	ds_read_b128 v[8:11], v204 offset:9984
	v_accvgpr_read_b32 v19, a1
	v_accvgpr_read_b32 v18, a0
	s_waitcnt lgkmcnt(1)
	v_mul_f64 v[16:17], v[20:21], v[6:7]
	v_mov_b32_e32 v24, 0x2a40
	v_fmac_f64_e32 v[16:17], v[18:19], v[4:5]
	v_mul_f64 v[4:5], v[20:21], v[4:5]
	v_mad_u64_u32 v[14:15], s[2:3], s4, v24, v[14:15]
	v_fma_f64 v[4:5], v[18:19], v[6:7], -v[4:5]
	s_mul_i32 s2, s5, 0x2a40
	v_mul_f64 v[16:17], v[16:17], s[0:1]
	v_mul_f64 v[18:19], v[4:5], s[0:1]
	v_add_u32_e32 v15, s2, v15
	global_store_dwordx4 v[14:15], v[16:19], off
	v_mov_b32_e32 v25, 0xffffd900
	s_mul_i32 s3, s5, 0xffffd900
	v_accvgpr_read_b32 v19, a7
	v_accvgpr_read_b32 v18, a6
	;; [unrolled: 1-line block ×4, first 2 shown]
	v_mul_f64 v[4:5], v[18:19], v[2:3]
	v_fmac_f64_e32 v[4:5], v[16:17], v[0:1]
	v_mul_f64 v[0:1], v[18:19], v[0:1]
	v_fma_f64 v[0:1], v[16:17], v[2:3], -v[0:1]
	v_mul_f64 v[6:7], v[0:1], s[0:1]
	ds_read_b128 v[0:3], v204 offset:11648
	v_mad_u64_u32 v[18:19], s[6:7], s4, v25, v[14:15]
	s_sub_i32 s3, s3, s4
	v_accvgpr_read_b32 v23, a11
	v_mul_f64 v[4:5], v[4:5], s[0:1]
	v_add_u32_e32 v19, s3, v19
	v_accvgpr_read_b32 v22, a10
	global_store_dwordx4 v[18:19], v[4:7], off
	ds_read_b128 v[4:7], v204 offset:12480
	v_accvgpr_read_b32 v21, a9
	v_accvgpr_read_b32 v20, a8
	s_waitcnt lgkmcnt(1)
	v_mul_f64 v[14:15], v[22:23], v[2:3]
	v_fmac_f64_e32 v[14:15], v[20:21], v[0:1]
	v_mul_f64 v[0:1], v[22:23], v[0:1]
	v_fma_f64 v[0:1], v[20:21], v[2:3], -v[0:1]
	v_mul_f64 v[16:17], v[0:1], s[0:1]
	ds_read_b128 v[0:3], v204 offset:1664
	v_mad_u64_u32 v[22:23], s[6:7], s4, v24, v[18:19]
	v_accvgpr_read_b32 v29, a15
	v_mul_f64 v[14:15], v[14:15], s[0:1]
	v_add_u32_e32 v23, s2, v23
	v_accvgpr_read_b32 v28, a14
	global_store_dwordx4 v[22:23], v[14:17], off
	ds_read_b128 v[14:17], v204 offset:2496
	v_accvgpr_read_b32 v27, a13
	v_accvgpr_read_b32 v26, a12
	s_waitcnt lgkmcnt(1)
	v_mul_f64 v[18:19], v[28:29], v[2:3]
	v_fmac_f64_e32 v[18:19], v[26:27], v[0:1]
	v_mul_f64 v[0:1], v[28:29], v[0:1]
	v_fma_f64 v[0:1], v[26:27], v[2:3], -v[0:1]
	v_mad_u64_u32 v[22:23], s[6:7], s4, v25, v[22:23]
	v_mul_f64 v[18:19], v[18:19], s[0:1]
	v_mul_f64 v[20:21], v[0:1], s[0:1]
	v_add_u32_e32 v23, s3, v23
	global_store_dwordx4 v[22:23], v[18:21], off
	v_accvgpr_read_b32 v26, a30
	v_accvgpr_read_b32 v28, a32
	;; [unrolled: 1-line block ×6, first 2 shown]
	v_mul_f64 v[0:1], v[20:21], v[6:7]
	v_mul_f64 v[2:3], v[20:21], v[4:5]
	v_fmac_f64_e32 v[0:1], v[18:19], v[4:5]
	v_fma_f64 v[2:3], v[18:19], v[6:7], -v[2:3]
	v_mad_u64_u32 v[18:19], s[6:7], s4, v24, v[22:23]
	v_accvgpr_read_b32 v4, a20
	v_mul_f64 v[0:1], v[0:1], s[0:1]
	v_mul_f64 v[2:3], v[2:3], s[0:1]
	v_add_u32_e32 v19, s2, v19
	v_accvgpr_read_b32 v6, a22
	v_accvgpr_read_b32 v7, a23
	global_store_dwordx4 v[18:19], v[0:3], off
	v_accvgpr_read_b32 v5, a21
	v_mad_u64_u32 v[20:21], s[6:7], s4, v25, v[18:19]
	s_waitcnt lgkmcnt(0)
	v_mul_f64 v[0:1], v[6:7], v[16:17]
	v_mul_f64 v[2:3], v[6:7], v[14:15]
	v_fmac_f64_e32 v[0:1], v[4:5], v[14:15]
	v_fma_f64 v[2:3], v[4:5], v[16:17], -v[2:3]
	ds_read_b128 v[4:7], v204 offset:13312
	v_accvgpr_read_b32 v16, a26
	v_mul_f64 v[0:1], v[0:1], s[0:1]
	v_mul_f64 v[2:3], v[2:3], s[0:1]
	v_add_u32_e32 v21, s3, v21
	v_accvgpr_read_b32 v18, a28
	v_accvgpr_read_b32 v19, a29
	global_store_dwordx4 v[20:21], v[0:3], off
	ds_read_b128 v[0:3], v204 offset:14144
	v_accvgpr_read_b32 v17, a27
	s_waitcnt lgkmcnt(1)
	v_mul_f64 v[14:15], v[18:19], v[6:7]
	v_fmac_f64_e32 v[14:15], v[16:17], v[4:5]
	v_mul_f64 v[4:5], v[18:19], v[4:5]
	v_fma_f64 v[4:5], v[16:17], v[6:7], -v[4:5]
	v_mul_f64 v[16:17], v[4:5], s[0:1]
	v_accvgpr_read_b32 v5, a24
	v_mad_u64_u32 v[18:19], s[6:7], s4, v5, 0
	v_mov_b32_e32 v4, v19
	v_mad_u64_u32 v[22:23], s[6:7], s5, v5, v[4:5]
	ds_read_b128 v[4:7], v204 offset:3328
	v_mov_b32_e32 v19, v22
	v_mul_f64 v[14:15], v[14:15], s[0:1]
	v_lshl_add_u64 v[12:13], v[18:19], 4, v[12:13]
	v_accvgpr_read_b32 v29, a33
	global_store_dwordx4 v[12:13], v[14:17], off
	ds_read_b128 v[12:15], v204 offset:4160
	v_accvgpr_read_b32 v27, a31
	s_waitcnt lgkmcnt(1)
	v_mul_f64 v[16:17], v[28:29], v[6:7]
	v_fmac_f64_e32 v[16:17], v[26:27], v[4:5]
	v_mul_f64 v[4:5], v[28:29], v[4:5]
	v_fma_f64 v[4:5], v[26:27], v[6:7], -v[4:5]
	v_mul_f64 v[18:19], v[4:5], s[0:1]
	v_mov_b32_e32 v4, 0x340
	v_mad_u64_u32 v[20:21], s[6:7], s4, v4, v[20:21]
	s_mulk_i32 s5, 0x340
	v_mul_f64 v[16:17], v[16:17], s[0:1]
	v_add_u32_e32 v21, s5, v21
	global_store_dwordx4 v[20:21], v[16:19], off
	v_accvgpr_read_b32 v26, a58
	v_accvgpr_read_b32 v28, a60
	v_accvgpr_read_b32 v16, a54
	v_accvgpr_read_b32 v18, a56
	v_accvgpr_read_b32 v19, a57
	v_accvgpr_read_b32 v17, a55
	v_mul_f64 v[4:5], v[18:19], v[2:3]
	v_fmac_f64_e32 v[4:5], v[16:17], v[0:1]
	v_mul_f64 v[0:1], v[18:19], v[0:1]
	v_fma_f64 v[0:1], v[16:17], v[2:3], -v[0:1]
	v_mad_u64_u32 v[16:17], s[6:7], s4, v24, v[20:21]
	v_mul_f64 v[4:5], v[4:5], s[0:1]
	v_mul_f64 v[6:7], v[0:1], s[0:1]
	v_add_u32_e32 v17, s2, v17
	global_store_dwordx4 v[16:17], v[4:7], off
	v_mad_u64_u32 v[16:17], s[6:7], s4, v25, v[16:17]
	s_nop 0
	v_accvgpr_read_b32 v4, a90
	v_accvgpr_read_b32 v6, a92
	v_accvgpr_read_b32 v7, a93
	v_accvgpr_read_b32 v5, a91
	s_waitcnt lgkmcnt(0)
	v_mul_f64 v[0:1], v[6:7], v[14:15]
	v_mul_f64 v[2:3], v[6:7], v[12:13]
	v_fmac_f64_e32 v[0:1], v[4:5], v[12:13]
	v_fma_f64 v[2:3], v[4:5], v[14:15], -v[2:3]
	ds_read_b128 v[4:7], v204 offset:14976
	v_accvgpr_read_b32 v18, a78
	v_mul_f64 v[0:1], v[0:1], s[0:1]
	v_mul_f64 v[2:3], v[2:3], s[0:1]
	v_add_u32_e32 v17, s3, v17
	v_accvgpr_read_b32 v20, a80
	v_accvgpr_read_b32 v21, a81
	global_store_dwordx4 v[16:17], v[0:3], off
	ds_read_b128 v[0:3], v204 offset:15808
	v_accvgpr_read_b32 v19, a79
	s_waitcnt lgkmcnt(1)
	v_mul_f64 v[12:13], v[20:21], v[6:7]
	v_fmac_f64_e32 v[12:13], v[18:19], v[4:5]
	v_mul_f64 v[4:5], v[20:21], v[4:5]
	v_fma_f64 v[4:5], v[18:19], v[6:7], -v[4:5]
	v_mul_f64 v[14:15], v[4:5], s[0:1]
	ds_read_b128 v[4:7], v204 offset:4992
	v_mad_u64_u32 v[20:21], s[6:7], s4, v24, v[16:17]
	v_mul_f64 v[12:13], v[12:13], s[0:1]
	v_add_u32_e32 v21, s2, v21
	v_accvgpr_read_b32 v29, a61
	global_store_dwordx4 v[20:21], v[12:15], off
	ds_read_b128 v[12:15], v204 offset:5824
	v_accvgpr_read_b32 v27, a59
	s_waitcnt lgkmcnt(1)
	v_mul_f64 v[16:17], v[28:29], v[6:7]
	v_fmac_f64_e32 v[16:17], v[26:27], v[4:5]
	v_mul_f64 v[4:5], v[28:29], v[4:5]
	v_fma_f64 v[4:5], v[26:27], v[6:7], -v[4:5]
	v_mad_u64_u32 v[20:21], s[6:7], s4, v25, v[20:21]
	v_mul_f64 v[16:17], v[16:17], s[0:1]
	v_mul_f64 v[18:19], v[4:5], s[0:1]
	v_add_u32_e32 v21, s3, v21
	global_store_dwordx4 v[20:21], v[16:19], off
	v_accvgpr_read_b32 v26, a66
	v_accvgpr_read_b32 v28, a68
	v_accvgpr_read_b32 v16, a62
	v_accvgpr_read_b32 v18, a64
	v_accvgpr_read_b32 v19, a65
	v_accvgpr_read_b32 v17, a63
	v_mul_f64 v[4:5], v[18:19], v[2:3]
	v_fmac_f64_e32 v[4:5], v[16:17], v[0:1]
	v_mul_f64 v[0:1], v[18:19], v[0:1]
	v_fma_f64 v[0:1], v[16:17], v[2:3], -v[0:1]
	v_mad_u64_u32 v[16:17], s[6:7], s4, v24, v[20:21]
	v_mul_f64 v[4:5], v[4:5], s[0:1]
	v_mul_f64 v[6:7], v[0:1], s[0:1]
	v_add_u32_e32 v17, s2, v17
	global_store_dwordx4 v[16:17], v[4:7], off
	v_mad_u64_u32 v[16:17], s[6:7], s4, v25, v[16:17]
	s_nop 0
	v_accvgpr_read_b32 v4, a82
	v_accvgpr_read_b32 v6, a84
	v_accvgpr_read_b32 v7, a85
	v_accvgpr_read_b32 v5, a83
	s_waitcnt lgkmcnt(0)
	v_mul_f64 v[0:1], v[6:7], v[14:15]
	v_mul_f64 v[2:3], v[6:7], v[12:13]
	v_fmac_f64_e32 v[0:1], v[4:5], v[12:13]
	v_fma_f64 v[2:3], v[4:5], v[14:15], -v[2:3]
	ds_read_b128 v[4:7], v204 offset:16640
	v_accvgpr_read_b32 v18, a86
	v_mul_f64 v[0:1], v[0:1], s[0:1]
	v_mul_f64 v[2:3], v[2:3], s[0:1]
	v_add_u32_e32 v17, s3, v17
	v_accvgpr_read_b32 v20, a88
	v_accvgpr_read_b32 v21, a89
	global_store_dwordx4 v[16:17], v[0:3], off
	ds_read_b128 v[0:3], v204 offset:17472
	v_accvgpr_read_b32 v19, a87
	s_waitcnt lgkmcnt(1)
	v_mul_f64 v[12:13], v[20:21], v[6:7]
	v_fmac_f64_e32 v[12:13], v[18:19], v[4:5]
	v_mul_f64 v[4:5], v[20:21], v[4:5]
	v_fma_f64 v[4:5], v[18:19], v[6:7], -v[4:5]
	v_mul_f64 v[14:15], v[4:5], s[0:1]
	ds_read_b128 v[4:7], v204 offset:6656
	v_mad_u64_u32 v[20:21], s[6:7], s4, v24, v[16:17]
	v_mul_f64 v[12:13], v[12:13], s[0:1]
	v_add_u32_e32 v21, s2, v21
	v_accvgpr_read_b32 v29, a69
	global_store_dwordx4 v[20:21], v[12:15], off
	ds_read_b128 v[12:15], v204 offset:7488
	v_accvgpr_read_b32 v27, a67
	s_waitcnt lgkmcnt(1)
	v_mul_f64 v[16:17], v[28:29], v[6:7]
	v_fmac_f64_e32 v[16:17], v[26:27], v[4:5]
	v_mul_f64 v[4:5], v[28:29], v[4:5]
	v_fma_f64 v[4:5], v[26:27], v[6:7], -v[4:5]
	v_mad_u64_u32 v[20:21], s[6:7], s4, v25, v[20:21]
	v_mul_f64 v[16:17], v[16:17], s[0:1]
	;; [unrolled: 60-line block ×3, first 2 shown]
	v_mul_f64 v[18:19], v[4:5], s[0:1]
	v_add_u32_e32 v21, s3, v21
	global_store_dwordx4 v[20:21], v[16:19], off
	s_nop 1
	v_accvgpr_read_b32 v16, a42
	v_accvgpr_read_b32 v18, a44
	;; [unrolled: 1-line block ×4, first 2 shown]
	v_mul_f64 v[4:5], v[18:19], v[2:3]
	v_fmac_f64_e32 v[4:5], v[16:17], v[0:1]
	v_mul_f64 v[0:1], v[18:19], v[0:1]
	v_fma_f64 v[0:1], v[16:17], v[2:3], -v[0:1]
	v_mad_u64_u32 v[16:17], s[6:7], s4, v24, v[20:21]
	v_mul_f64 v[4:5], v[4:5], s[0:1]
	v_mul_f64 v[6:7], v[0:1], s[0:1]
	v_add_u32_e32 v17, s2, v17
	global_store_dwordx4 v[16:17], v[4:7], off
	v_mad_u64_u32 v[16:17], s[6:7], s4, v25, v[16:17]
	s_nop 0
	v_accvgpr_read_b32 v4, a46
	v_accvgpr_read_b32 v6, a48
	;; [unrolled: 1-line block ×4, first 2 shown]
	s_waitcnt lgkmcnt(0)
	v_mul_f64 v[0:1], v[6:7], v[14:15]
	v_mul_f64 v[2:3], v[6:7], v[12:13]
	v_fmac_f64_e32 v[0:1], v[4:5], v[12:13]
	v_fma_f64 v[2:3], v[4:5], v[14:15], -v[2:3]
	ds_read_b128 v[4:7], v204 offset:19968
	v_accvgpr_read_b32 v18, a34
	v_mul_f64 v[0:1], v[0:1], s[0:1]
	v_mul_f64 v[2:3], v[2:3], s[0:1]
	v_add_u32_e32 v17, s3, v17
	v_accvgpr_read_b32 v20, a36
	v_accvgpr_read_b32 v21, a37
	global_store_dwordx4 v[16:17], v[0:3], off
	ds_read_b128 v[0:3], v204 offset:20800
	v_accvgpr_read_b32 v19, a35
	s_waitcnt lgkmcnt(1)
	v_mul_f64 v[12:13], v[20:21], v[6:7]
	v_fmac_f64_e32 v[12:13], v[18:19], v[4:5]
	v_mul_f64 v[4:5], v[20:21], v[4:5]
	v_fma_f64 v[4:5], v[18:19], v[6:7], -v[4:5]
	v_mad_u64_u32 v[16:17], s[6:7], s4, v24, v[16:17]
	v_mul_f64 v[12:13], v[12:13], s[0:1]
	v_mul_f64 v[14:15], v[4:5], s[0:1]
	v_add_u32_e32 v17, s2, v17
	global_store_dwordx4 v[16:17], v[12:15], off
	s_nop 1
	v_accvgpr_read_b32 v12, a100
	v_accvgpr_read_b32 v14, a102
	;; [unrolled: 1-line block ×4, first 2 shown]
	v_mul_f64 v[4:5], v[14:15], v[10:11]
	v_mul_f64 v[6:7], v[14:15], v[8:9]
	v_fmac_f64_e32 v[4:5], v[12:13], v[8:9]
	v_fma_f64 v[6:7], v[12:13], v[10:11], -v[6:7]
	v_mad_u64_u32 v[8:9], s[6:7], s4, v25, v[16:17]
	v_accvgpr_read_b32 v10, a104
	v_mul_f64 v[4:5], v[4:5], s[0:1]
	v_mul_f64 v[6:7], v[6:7], s[0:1]
	v_add_u32_e32 v9, s3, v9
	v_accvgpr_read_b32 v12, a106
	v_accvgpr_read_b32 v13, a107
	global_store_dwordx4 v[8:9], v[4:7], off
	v_accvgpr_read_b32 v11, a105
	s_waitcnt lgkmcnt(0)
	v_mul_f64 v[4:5], v[12:13], v[2:3]
	v_fmac_f64_e32 v[4:5], v[10:11], v[0:1]
	v_mul_f64 v[0:1], v[12:13], v[0:1]
	v_fma_f64 v[0:1], v[10:11], v[2:3], -v[0:1]
	v_mul_f64 v[4:5], v[4:5], s[0:1]
	v_mul_f64 v[6:7], v[0:1], s[0:1]
	v_mad_u64_u32 v[0:1], s[0:1], s4, v24, v[8:9]
	v_add_u32_e32 v1, s2, v1
	global_store_dwordx4 v[0:1], v[4:7], off
.LBB0_12:
	s_endpgm
	.section	.rodata,"a",@progbits
	.p2align	6, 0x0
	.amdhsa_kernel bluestein_single_back_len1352_dim1_dp_op_CI_CI
		.amdhsa_group_segment_fixed_size 21632
		.amdhsa_private_segment_fixed_size 0
		.amdhsa_kernarg_size 104
		.amdhsa_user_sgpr_count 2
		.amdhsa_user_sgpr_dispatch_ptr 0
		.amdhsa_user_sgpr_queue_ptr 0
		.amdhsa_user_sgpr_kernarg_segment_ptr 1
		.amdhsa_user_sgpr_dispatch_id 0
		.amdhsa_user_sgpr_kernarg_preload_length 0
		.amdhsa_user_sgpr_kernarg_preload_offset 0
		.amdhsa_user_sgpr_private_segment_size 0
		.amdhsa_uses_dynamic_stack 0
		.amdhsa_enable_private_segment 0
		.amdhsa_system_sgpr_workgroup_id_x 1
		.amdhsa_system_sgpr_workgroup_id_y 0
		.amdhsa_system_sgpr_workgroup_id_z 0
		.amdhsa_system_sgpr_workgroup_info 0
		.amdhsa_system_vgpr_workitem_id 0
		.amdhsa_next_free_vgpr 490
		.amdhsa_next_free_sgpr 50
		.amdhsa_accum_offset 256
		.amdhsa_reserve_vcc 1
		.amdhsa_float_round_mode_32 0
		.amdhsa_float_round_mode_16_64 0
		.amdhsa_float_denorm_mode_32 3
		.amdhsa_float_denorm_mode_16_64 3
		.amdhsa_dx10_clamp 1
		.amdhsa_ieee_mode 1
		.amdhsa_fp16_overflow 0
		.amdhsa_tg_split 0
		.amdhsa_exception_fp_ieee_invalid_op 0
		.amdhsa_exception_fp_denorm_src 0
		.amdhsa_exception_fp_ieee_div_zero 0
		.amdhsa_exception_fp_ieee_overflow 0
		.amdhsa_exception_fp_ieee_underflow 0
		.amdhsa_exception_fp_ieee_inexact 0
		.amdhsa_exception_int_div_zero 0
	.end_amdhsa_kernel
	.text
.Lfunc_end0:
	.size	bluestein_single_back_len1352_dim1_dp_op_CI_CI, .Lfunc_end0-bluestein_single_back_len1352_dim1_dp_op_CI_CI
                                        ; -- End function
	.section	.AMDGPU.csdata,"",@progbits
; Kernel info:
; codeLenInByte = 46532
; NumSgprs: 56
; NumVgprs: 256
; NumAgprs: 234
; TotalNumVgprs: 490
; ScratchSize: 0
; MemoryBound: 0
; FloatMode: 240
; IeeeMode: 1
; LDSByteSize: 21632 bytes/workgroup (compile time only)
; SGPRBlocks: 6
; VGPRBlocks: 61
; NumSGPRsForWavesPerEU: 56
; NumVGPRsForWavesPerEU: 490
; AccumOffset: 256
; Occupancy: 1
; WaveLimiterHint : 1
; COMPUTE_PGM_RSRC2:SCRATCH_EN: 0
; COMPUTE_PGM_RSRC2:USER_SGPR: 2
; COMPUTE_PGM_RSRC2:TRAP_HANDLER: 0
; COMPUTE_PGM_RSRC2:TGID_X_EN: 1
; COMPUTE_PGM_RSRC2:TGID_Y_EN: 0
; COMPUTE_PGM_RSRC2:TGID_Z_EN: 0
; COMPUTE_PGM_RSRC2:TIDIG_COMP_CNT: 0
; COMPUTE_PGM_RSRC3_GFX90A:ACCUM_OFFSET: 63
; COMPUTE_PGM_RSRC3_GFX90A:TG_SPLIT: 0
	.text
	.p2alignl 6, 3212836864
	.fill 256, 4, 3212836864
	.type	__hip_cuid_80a97eb386fa4612,@object ; @__hip_cuid_80a97eb386fa4612
	.section	.bss,"aw",@nobits
	.globl	__hip_cuid_80a97eb386fa4612
__hip_cuid_80a97eb386fa4612:
	.byte	0                               ; 0x0
	.size	__hip_cuid_80a97eb386fa4612, 1

	.ident	"AMD clang version 19.0.0git (https://github.com/RadeonOpenCompute/llvm-project roc-6.4.0 25133 c7fe45cf4b819c5991fe208aaa96edf142730f1d)"
	.section	".note.GNU-stack","",@progbits
	.addrsig
	.addrsig_sym __hip_cuid_80a97eb386fa4612
	.amdgpu_metadata
---
amdhsa.kernels:
  - .agpr_count:     234
    .args:
      - .actual_access:  read_only
        .address_space:  global
        .offset:         0
        .size:           8
        .value_kind:     global_buffer
      - .actual_access:  read_only
        .address_space:  global
        .offset:         8
        .size:           8
        .value_kind:     global_buffer
      - .actual_access:  read_only
        .address_space:  global
        .offset:         16
        .size:           8
        .value_kind:     global_buffer
      - .actual_access:  read_only
        .address_space:  global
        .offset:         24
        .size:           8
        .value_kind:     global_buffer
      - .actual_access:  read_only
        .address_space:  global
        .offset:         32
        .size:           8
        .value_kind:     global_buffer
      - .offset:         40
        .size:           8
        .value_kind:     by_value
      - .address_space:  global
        .offset:         48
        .size:           8
        .value_kind:     global_buffer
      - .address_space:  global
        .offset:         56
        .size:           8
        .value_kind:     global_buffer
      - .address_space:  global
        .offset:         64
        .size:           8
        .value_kind:     global_buffer
      - .address_space:  global
        .offset:         72
        .size:           8
        .value_kind:     global_buffer
      - .offset:         80
        .size:           4
        .value_kind:     by_value
      - .address_space:  global
        .offset:         88
        .size:           8
        .value_kind:     global_buffer
      - .address_space:  global
        .offset:         96
        .size:           8
        .value_kind:     global_buffer
    .group_segment_fixed_size: 21632
    .kernarg_segment_align: 8
    .kernarg_segment_size: 104
    .language:       OpenCL C
    .language_version:
      - 2
      - 0
    .max_flat_workgroup_size: 52
    .name:           bluestein_single_back_len1352_dim1_dp_op_CI_CI
    .private_segment_fixed_size: 0
    .sgpr_count:     56
    .sgpr_spill_count: 0
    .symbol:         bluestein_single_back_len1352_dim1_dp_op_CI_CI.kd
    .uniform_work_group_size: 1
    .uses_dynamic_stack: false
    .vgpr_count:     490
    .vgpr_spill_count: 0
    .wavefront_size: 64
amdhsa.target:   amdgcn-amd-amdhsa--gfx950
amdhsa.version:
  - 1
  - 2
...

	.end_amdgpu_metadata
